;; amdgpu-corpus repo=ROCm/rocFFT kind=compiled arch=gfx906 opt=O3
	.text
	.amdgcn_target "amdgcn-amd-amdhsa--gfx906"
	.amdhsa_code_object_version 6
	.protected	bluestein_single_back_len1785_dim1_sp_op_CI_CI ; -- Begin function bluestein_single_back_len1785_dim1_sp_op_CI_CI
	.globl	bluestein_single_back_len1785_dim1_sp_op_CI_CI
	.p2align	8
	.type	bluestein_single_back_len1785_dim1_sp_op_CI_CI,@function
bluestein_single_back_len1785_dim1_sp_op_CI_CI: ; @bluestein_single_back_len1785_dim1_sp_op_CI_CI
; %bb.0:
	s_mov_b64 s[26:27], s[2:3]
	s_mov_b64 s[24:25], s[0:1]
	s_load_dwordx4 s[0:3], s[4:5], 0x28
	v_mul_u32_u24_e32 v1, 0x227, v0
	v_add_u32_sdwa v199, s6, v1 dst_sel:DWORD dst_unused:UNUSED_PAD src0_sel:DWORD src1_sel:WORD_1
	v_mov_b32_e32 v200, 0
	s_add_u32 s24, s24, s7
	s_waitcnt lgkmcnt(0)
	v_cmp_gt_u64_e32 vcc, s[0:1], v[199:200]
	s_addc_u32 s25, s25, 0
	s_and_saveexec_b64 s[0:1], vcc
	s_cbranch_execz .LBB0_23
; %bb.1:
	s_load_dwordx2 s[8:9], s[4:5], 0x0
	s_load_dwordx2 s[10:11], s[4:5], 0x38
	s_movk_i32 s0, 0x77
	v_mul_lo_u16_sdwa v1, v1, s0 dst_sel:DWORD dst_unused:UNUSED_PAD src0_sel:WORD_1 src1_sel:DWORD
	v_sub_u16_e32 v136, v0, v1
	s_movk_i32 s0, 0x69
	v_cmp_gt_u16_e64 s[0:1], s0, v136
	v_lshlrev_b32_e32 v135, 3, v136
	s_and_saveexec_b64 s[6:7], s[0:1]
	s_cbranch_execz .LBB0_3
; %bb.2:
	s_load_dwordx2 s[12:13], s[4:5], 0x18
	s_waitcnt lgkmcnt(0)
	s_load_dwordx4 s[12:15], s[12:13], 0x0
	s_waitcnt lgkmcnt(0)
	v_mad_u64_u32 v[0:1], s[16:17], s14, v199, 0
	v_mad_u64_u32 v[2:3], s[16:17], s12, v136, 0
	;; [unrolled: 1-line block ×4, first 2 shown]
	v_mov_b32_e32 v1, v4
	v_lshlrev_b64 v[0:1], 3, v[0:1]
	v_mov_b32_e32 v3, v5
	v_mov_b32_e32 v6, s3
	v_lshlrev_b64 v[2:3], 3, v[2:3]
	v_add_co_u32_e32 v0, vcc, s2, v0
	v_addc_co_u32_e32 v1, vcc, v6, v1, vcc
	v_add_co_u32_e32 v0, vcc, v0, v2
	v_addc_co_u32_e32 v1, vcc, v1, v3, vcc
	v_mov_b32_e32 v2, s9
	v_add_co_u32_e32 v64, vcc, s8, v135
	s_mul_i32 s2, s13, 0x348
	s_mul_hi_u32 s3, s12, 0x348
	v_addc_co_u32_e32 v65, vcc, 0, v2, vcc
	s_add_i32 s2, s3, s2
	s_mul_i32 s3, s12, 0x348
	v_mov_b32_e32 v3, s2
	v_add_co_u32_e32 v2, vcc, s3, v0
	v_addc_co_u32_e32 v3, vcc, v1, v3, vcc
	v_mov_b32_e32 v5, s2
	v_add_co_u32_e32 v4, vcc, s3, v2
	v_addc_co_u32_e32 v5, vcc, v3, v5, vcc
	;; [unrolled: 3-line block ×3, first 2 shown]
	global_load_dwordx2 v[8:9], v[0:1], off
	global_load_dwordx2 v[10:11], v[2:3], off
	;; [unrolled: 1-line block ×4, first 2 shown]
	global_load_dwordx2 v[16:17], v135, s[8:9]
	global_load_dwordx2 v[18:19], v135, s[8:9] offset:840
	global_load_dwordx2 v[20:21], v135, s[8:9] offset:1680
	;; [unrolled: 1-line block ×3, first 2 shown]
	v_mov_b32_e32 v1, s2
	v_add_co_u32_e32 v0, vcc, s3, v6
	v_addc_co_u32_e32 v1, vcc, v7, v1, vcc
	global_load_dwordx2 v[2:3], v[0:1], off
	global_load_dwordx2 v[4:5], v135, s[8:9] offset:3360
	v_mov_b32_e32 v6, s2
	v_add_co_u32_e32 v0, vcc, s3, v0
	v_addc_co_u32_e32 v1, vcc, v1, v6, vcc
	s_movk_i32 s12, 0x1000
	v_add_co_u32_e32 v24, vcc, s12, v64
	v_addc_co_u32_e32 v25, vcc, 0, v65, vcc
	global_load_dwordx2 v[6:7], v[0:1], off
	v_mov_b32_e32 v26, s2
	v_add_co_u32_e32 v0, vcc, s3, v0
	v_addc_co_u32_e32 v1, vcc, v1, v26, vcc
	global_load_dwordx2 v[26:27], v[0:1], off
	v_mov_b32_e32 v28, s2
	;; [unrolled: 4-line block ×3, first 2 shown]
	v_add_co_u32_e32 v0, vcc, s3, v0
	v_addc_co_u32_e32 v1, vcc, v1, v30, vcc
	global_load_dwordx2 v[30:31], v[0:1], off
	global_load_dwordx2 v[32:33], v[24:25], off offset:104
	global_load_dwordx2 v[34:35], v[24:25], off offset:944
	;; [unrolled: 1-line block ×4, first 2 shown]
	v_mov_b32_e32 v40, s2
	v_add_co_u32_e32 v0, vcc, s3, v0
	v_addc_co_u32_e32 v1, vcc, v1, v40, vcc
	global_load_dwordx2 v[40:41], v[0:1], off
	global_load_dwordx2 v[42:43], v[24:25], off offset:3464
	v_mov_b32_e32 v24, s2
	v_add_co_u32_e32 v0, vcc, s3, v0
	v_addc_co_u32_e32 v1, vcc, v1, v24, vcc
	s_movk_i32 s12, 0x2000
	v_add_co_u32_e32 v44, vcc, s12, v64
	v_addc_co_u32_e32 v45, vcc, 0, v65, vcc
	global_load_dwordx2 v[24:25], v[0:1], off
	v_mov_b32_e32 v46, s2
	v_add_co_u32_e32 v0, vcc, s3, v0
	v_addc_co_u32_e32 v1, vcc, v1, v46, vcc
	global_load_dwordx2 v[46:47], v[0:1], off
	v_mov_b32_e32 v48, s2
	;; [unrolled: 4-line block ×3, first 2 shown]
	v_add_co_u32_e32 v0, vcc, s3, v0
	v_addc_co_u32_e32 v1, vcc, v1, v50, vcc
	global_load_dwordx2 v[50:51], v[44:45], off offset:208
	global_load_dwordx2 v[52:53], v[0:1], off
	global_load_dwordx2 v[54:55], v[44:45], off offset:1048
	global_load_dwordx2 v[56:57], v[44:45], off offset:1888
	;; [unrolled: 1-line block ×3, first 2 shown]
	v_mov_b32_e32 v60, s2
	v_add_co_u32_e32 v0, vcc, s3, v0
	v_addc_co_u32_e32 v1, vcc, v1, v60, vcc
	global_load_dwordx2 v[60:61], v[0:1], off
	global_load_dwordx2 v[62:63], v[44:45], off offset:3568
	v_mov_b32_e32 v44, s2
	v_add_co_u32_e32 v0, vcc, s3, v0
	v_addc_co_u32_e32 v1, vcc, v1, v44, vcc
	s_movk_i32 s12, 0x3000
	v_add_co_u32_e32 v64, vcc, s12, v64
	v_addc_co_u32_e32 v65, vcc, 0, v65, vcc
	global_load_dwordx2 v[44:45], v[0:1], off
	global_load_dwordx2 v[66:67], v[64:65], off offset:312
	v_mov_b32_e32 v68, s2
	v_add_co_u32_e32 v0, vcc, s3, v0
	v_addc_co_u32_e32 v1, vcc, v1, v68, vcc
	global_load_dwordx2 v[68:69], v[0:1], off
	global_load_dwordx2 v[70:71], v[64:65], off offset:1152
	s_waitcnt vmcnt(29)
	v_mul_f32_e32 v0, v9, v17
	v_mul_f32_e32 v1, v8, v17
	v_fmac_f32_e32 v0, v8, v16
	v_fma_f32 v1, v9, v16, -v1
	s_waitcnt vmcnt(28)
	v_mul_f32_e32 v8, v11, v19
	v_mul_f32_e32 v9, v10, v19
	v_fmac_f32_e32 v8, v10, v18
	v_fma_f32 v9, v11, v18, -v9
	ds_write2_b64 v135, v[0:1], v[8:9] offset1:105
	s_waitcnt vmcnt(27)
	v_mul_f32_e32 v0, v13, v21
	v_mul_f32_e32 v1, v12, v21
	s_waitcnt vmcnt(26)
	v_mul_f32_e32 v8, v15, v23
	v_mul_f32_e32 v9, v14, v23
	v_fmac_f32_e32 v0, v12, v20
	v_fma_f32 v1, v13, v20, -v1
	v_fmac_f32_e32 v8, v14, v22
	v_fma_f32 v9, v15, v22, -v9
	v_add_u32_e32 v10, 0x400, v135
	ds_write2_b64 v10, v[0:1], v[8:9] offset0:82 offset1:187
	s_waitcnt vmcnt(24)
	v_mul_f32_e32 v0, v3, v5
	v_mul_f32_e32 v1, v2, v5
	v_fmac_f32_e32 v0, v2, v4
	v_fma_f32 v1, v3, v4, -v1
	s_waitcnt vmcnt(19)
	v_mul_f32_e32 v2, v7, v33
	v_mul_f32_e32 v3, v6, v33
	v_fmac_f32_e32 v2, v6, v32
	v_fma_f32 v3, v7, v32, -v3
	v_add_u32_e32 v4, 0xc00, v135
	ds_write2_b64 v4, v[0:1], v[2:3] offset0:36 offset1:141
	s_waitcnt vmcnt(18)
	v_mul_f32_e32 v0, v27, v35
	v_mul_f32_e32 v1, v26, v35
	s_waitcnt vmcnt(17)
	v_mul_f32_e32 v2, v29, v37
	v_mul_f32_e32 v3, v28, v37
	v_fmac_f32_e32 v0, v26, v34
	v_fma_f32 v1, v27, v34, -v1
	v_fmac_f32_e32 v2, v28, v36
	v_fma_f32 v3, v29, v36, -v3
	v_add_u32_e32 v4, 0x1000, v135
	ds_write2_b64 v4, v[0:1], v[2:3] offset0:118 offset1:223
	s_waitcnt vmcnt(16)
	v_mul_f32_e32 v0, v31, v39
	v_mul_f32_e32 v1, v30, v39
	s_waitcnt vmcnt(14)
	v_mul_f32_e32 v2, v41, v43
	v_mul_f32_e32 v3, v40, v43
	v_fmac_f32_e32 v0, v30, v38
	v_fma_f32 v1, v31, v38, -v1
	v_fmac_f32_e32 v2, v40, v42
	v_fma_f32 v3, v41, v42, -v3
	v_add_u32_e32 v4, 0x1800, v135
	ds_write2_b64 v4, v[0:1], v[2:3] offset0:72 offset1:177
	v_add_u32_e32 v4, 0x2000, v135
	s_waitcnt vmcnt(10)
	v_mul_f32_e32 v0, v25, v51
	v_mul_f32_e32 v1, v24, v51
	s_waitcnt vmcnt(8)
	v_mul_f32_e32 v2, v47, v55
	v_mul_f32_e32 v3, v46, v55
	v_fmac_f32_e32 v0, v24, v50
	v_fma_f32 v1, v25, v50, -v1
	v_fmac_f32_e32 v2, v46, v54
	v_fma_f32 v3, v47, v54, -v3
	ds_write2_b64 v4, v[0:1], v[2:3] offset0:26 offset1:131
	s_waitcnt vmcnt(7)
	v_mul_f32_e32 v0, v49, v57
	v_mul_f32_e32 v1, v48, v57
	s_waitcnt vmcnt(6)
	v_mul_f32_e32 v2, v53, v59
	v_mul_f32_e32 v3, v52, v59
	v_fmac_f32_e32 v0, v48, v56
	v_fma_f32 v1, v49, v56, -v1
	v_fmac_f32_e32 v2, v52, v58
	v_fma_f32 v3, v53, v58, -v3
	v_add_u32_e32 v4, 0x2400, v135
	ds_write2_b64 v4, v[0:1], v[2:3] offset0:108 offset1:213
	s_waitcnt vmcnt(4)
	v_mul_f32_e32 v0, v61, v63
	v_mul_f32_e32 v1, v60, v63
	v_fmac_f32_e32 v0, v60, v62
	s_waitcnt vmcnt(2)
	v_mul_f32_e32 v2, v45, v67
	v_mul_f32_e32 v3, v44, v67
	v_fma_f32 v1, v61, v62, -v1
	v_fmac_f32_e32 v2, v44, v66
	v_fma_f32 v3, v45, v66, -v3
	v_add_u32_e32 v4, 0x2c00, v135
	ds_write2_b64 v4, v[0:1], v[2:3] offset0:62 offset1:167
	s_waitcnt vmcnt(0)
	v_mul_f32_e32 v0, v69, v71
	v_mul_f32_e32 v1, v68, v71
	v_fmac_f32_e32 v0, v68, v70
	v_fma_f32 v1, v69, v70, -v1
	ds_write_b64 v135, v[0:1] offset:13440
.LBB0_3:
	s_or_b64 exec, exec, s[6:7]
	s_load_dwordx2 s[2:3], s[4:5], 0x20
	s_load_dwordx2 s[12:13], s[4:5], 0x8
	v_mov_b32_e32 v6, 0
	v_mov_b32_e32 v7, 0
	s_waitcnt lgkmcnt(0)
	s_barrier
	s_waitcnt lgkmcnt(0)
                                        ; implicit-def: $vgpr10
                                        ; implicit-def: $vgpr14
                                        ; implicit-def: $vgpr0
                                        ; implicit-def: $vgpr20
                                        ; implicit-def: $vgpr24
                                        ; implicit-def: $vgpr28
                                        ; implicit-def: $vgpr32
                                        ; implicit-def: $vgpr36
	s_and_saveexec_b64 s[4:5], s[0:1]
	s_cbranch_execz .LBB0_5
; %bb.4:
	v_add_u32_e32 v0, 0x400, v135
	ds_read2_b64 v[34:37], v0 offset0:82 offset1:187
	v_add_u32_e32 v0, 0xc00, v135
	ds_read2_b64 v[30:33], v0 offset0:36 offset1:141
	v_add_u32_e32 v0, 0x1000, v135
	ds_read2_b64 v[26:29], v0 offset0:118 offset1:223
	v_add_u32_e32 v0, 0x1800, v135
	ds_read2_b64 v[22:25], v0 offset0:72 offset1:177
	v_add_u32_e32 v0, 0x2000, v135
	ds_read2_b64 v[10:13], v0 offset0:26 offset1:131
	v_add_u32_e32 v0, 0x2400, v135
	ds_read2_b64 v[14:17], v0 offset0:108 offset1:213
	v_add_u32_e32 v0, 0x2c00, v135
	ds_read2_b64 v[6:9], v135 offset1:105
	ds_read2_b64 v[18:21], v0 offset0:62 offset1:167
	ds_read_b64 v[0:1], v135 offset:13440
.LBB0_5:
	s_or_b64 exec, exec, s[4:5]
	s_waitcnt lgkmcnt(0)
	v_sub_f32_e32 v80, v9, v1
	v_mul_f32_e32 v54, 0xbeb8f4ab, v80
	v_sub_f32_e32 v85, v35, v21
	v_add_f32_e32 v38, v0, v8
	v_sub_f32_e32 v71, v8, v0
	v_mov_b32_e32 v2, v54
	v_mul_f32_e32 v55, 0xbf2c7751, v85
	v_add_f32_e32 v40, v1, v9
	s_mov_b32 s6, 0x3f6eb680
	v_mul_f32_e32 v56, 0xbeb8f4ab, v71
	v_fmac_f32_e32 v2, 0x3f6eb680, v38
	v_add_f32_e32 v39, v20, v34
	v_sub_f32_e32 v76, v34, v20
	v_mov_b32_e32 v41, v55
	v_add_f32_e32 v2, v2, v6
	v_fma_f32 v3, v40, s6, -v56
	s_mov_b32 s7, 0x3f3d2fb0
	v_mul_f32_e32 v60, 0xbf2c7751, v80
	v_add_f32_e32 v42, v21, v35
	v_mul_f32_e32 v58, 0xbf2c7751, v76
	v_fmac_f32_e32 v41, 0x3f3d2fb0, v39
	v_add_f32_e32 v3, v3, v7
	v_mov_b32_e32 v4, v60
	v_add_f32_e32 v2, v41, v2
	v_fma_f32 v41, v42, s7, -v58
	v_mul_f32_e32 v63, 0xbf7ee86f, v85
	v_mul_f32_e32 v65, 0xbf2c7751, v71
	v_fmac_f32_e32 v4, 0x3f3d2fb0, v38
	v_add_f32_e32 v3, v41, v3
	v_mov_b32_e32 v41, v63
	v_add_f32_e32 v4, v4, v6
	v_fma_f32 v5, v40, s7, -v65
	s_mov_b32 s14, 0x3dbcf732
	v_mul_f32_e32 v69, 0xbf7ee86f, v76
	v_fmac_f32_e32 v41, 0x3dbcf732, v39
	v_sub_f32_e32 v89, v37, v19
	v_add_f32_e32 v5, v5, v7
	v_add_f32_e32 v4, v41, v4
	v_fma_f32 v41, v42, s14, -v69
	v_mul_f32_e32 v57, 0xbf65296c, v89
	v_add_f32_e32 v5, v41, v5
	v_add_f32_e32 v41, v18, v36
	v_sub_f32_e32 v81, v36, v18
	v_mov_b32_e32 v43, v57
	v_add_f32_e32 v44, v19, v37
	s_mov_b32 s15, 0x3ee437d1
	v_mul_f32_e32 v61, 0xbf65296c, v81
	v_fmac_f32_e32 v43, 0x3ee437d1, v41
	v_add_f32_e32 v2, v43, v2
	v_fma_f32 v43, v44, s15, -v61
	v_mul_f32_e32 v67, 0xbf4c4adb, v89
	v_add_f32_e32 v3, v43, v3
	v_mov_b32_e32 v43, v67
	s_mov_b32 s16, 0xbf1a4643
	v_mul_f32_e32 v75, 0xbf4c4adb, v81
	v_fmac_f32_e32 v43, 0xbf1a4643, v41
	v_sub_f32_e32 v93, v31, v17
	v_add_f32_e32 v4, v43, v4
	v_fma_f32 v43, v44, s16, -v75
	v_mul_f32_e32 v59, 0xbf7ee86f, v93
	v_add_f32_e32 v5, v43, v5
	v_add_f32_e32 v43, v16, v30
	v_sub_f32_e32 v87, v30, v16
	v_mov_b32_e32 v45, v59
	v_add_f32_e32 v46, v17, v31
	v_mul_f32_e32 v64, 0xbf7ee86f, v87
	v_fmac_f32_e32 v45, 0x3dbcf732, v43
	v_add_f32_e32 v2, v45, v2
	v_fma_f32 v45, v46, s14, -v64
	v_mul_f32_e32 v72, 0xbe3c28d5, v93
	v_add_f32_e32 v3, v45, v3
	v_mov_b32_e32 v45, v72
	s_mov_b32 s17, 0xbf7ba420
	v_mul_f32_e32 v79, 0xbe3c28d5, v87
	v_fmac_f32_e32 v45, 0xbf7ba420, v43
	v_sub_f32_e32 v96, v33, v15
	v_add_f32_e32 v4, v45, v4
	v_fma_f32 v45, v46, s17, -v79
	v_mul_f32_e32 v62, 0xbf763a35, v96
	v_add_f32_e32 v5, v45, v5
	v_add_f32_e32 v45, v14, v32
	v_sub_f32_e32 v91, v32, v14
	v_mov_b32_e32 v47, v62
	v_add_f32_e32 v48, v15, v33
	s_mov_b32 s18, 0xbe8c1d8e
	v_mul_f32_e32 v68, 0xbf763a35, v91
	v_fmac_f32_e32 v47, 0xbe8c1d8e, v45
	v_add_f32_e32 v2, v47, v2
	v_fma_f32 v47, v48, s18, -v68
	v_mul_f32_e32 v78, 0x3f06c442, v96
	v_add_f32_e32 v3, v47, v3
	v_mov_b32_e32 v47, v78
	s_mov_b32 s19, 0xbf59a7d5
	v_mul_f32_e32 v84, 0x3f06c442, v91
	v_fmac_f32_e32 v47, 0xbf59a7d5, v45
	v_sub_f32_e32 v98, v27, v13
	v_add_f32_e32 v4, v47, v4
	v_fma_f32 v47, v48, s19, -v84
	v_mul_f32_e32 v66, 0xbf4c4adb, v98
	v_add_f32_e32 v5, v47, v5
	v_add_f32_e32 v47, v12, v26
	v_sub_f32_e32 v94, v26, v12
	v_mov_b32_e32 v49, v66
	v_add_f32_e32 v50, v13, v27
	v_mul_f32_e32 v73, 0xbf4c4adb, v94
	v_fmac_f32_e32 v49, 0xbf1a4643, v47
	v_add_f32_e32 v2, v49, v2
	v_fma_f32 v49, v50, s16, -v73
	v_mul_f32_e32 v83, 0x3f763a35, v98
	v_add_f32_e32 v3, v49, v3
	v_mov_b32_e32 v49, v83
	v_mul_f32_e32 v88, 0x3f763a35, v94
	v_fmac_f32_e32 v49, 0xbe8c1d8e, v47
	v_sub_f32_e32 v100, v29, v11
	v_add_f32_e32 v4, v49, v4
	v_fma_f32 v49, v50, s18, -v88
	v_mul_f32_e32 v70, 0xbf06c442, v100
	v_add_f32_e32 v5, v49, v5
	v_add_f32_e32 v49, v10, v28
	v_sub_f32_e32 v97, v28, v10
	v_mov_b32_e32 v51, v70
	v_add_f32_e32 v52, v11, v29
	v_mul_f32_e32 v77, 0xbf06c442, v97
	v_fmac_f32_e32 v51, 0xbf59a7d5, v49
	v_add_f32_e32 v2, v51, v2
	v_fma_f32 v51, v52, s19, -v77
	v_mul_f32_e32 v86, 0x3f65296c, v100
	v_add_f32_e32 v3, v51, v3
	v_mov_b32_e32 v51, v86
	v_mul_f32_e32 v92, 0x3f65296c, v97
	v_fmac_f32_e32 v51, 0x3ee437d1, v49
	v_sub_f32_e32 v101, v23, v25
	v_add_f32_e32 v102, v51, v4
	v_fma_f32 v4, v52, s15, -v92
	v_mul_f32_e32 v74, 0xbe3c28d5, v101
	v_add_f32_e32 v103, v4, v5
	v_add_f32_e32 v51, v24, v22
	v_sub_f32_e32 v99, v22, v24
	v_mov_b32_e32 v4, v74
	v_add_f32_e32 v53, v25, v23
	v_mul_f32_e32 v82, 0xbe3c28d5, v99
	v_fmac_f32_e32 v4, 0xbf7ba420, v51
	v_add_f32_e32 v4, v4, v2
	v_fma_f32 v2, v53, s17, -v82
	v_mul_f32_e32 v90, 0x3eb8f4ab, v101
	v_add_f32_e32 v5, v2, v3
	v_mul_f32_e32 v95, 0x3eb8f4ab, v99
	v_mov_b32_e32 v2, v90
	v_fmac_f32_e32 v2, 0x3f6eb680, v51
	v_fma_f32 v3, v53, s6, -v95
	v_add_f32_e32 v2, v2, v102
	v_add_f32_e32 v3, v3, v103
	s_barrier
	s_and_saveexec_b64 s[4:5], s[0:1]
	s_cbranch_execz .LBB0_7
; %bb.6:
	v_mul_f32_e32 v102, 0x3ee437d1, v40
	v_mov_b32_e32 v103, v102
	v_fmac_f32_e32 v103, 0x3f65296c, v71
	v_add_f32_e32 v104, v103, v7
	v_mul_f32_e32 v103, 0xbf1a4643, v42
	v_mov_b32_e32 v105, v103
	v_fmac_f32_e32 v105, 0x3f4c4adb, v76
	v_add_f32_e32 v105, v105, v104
	v_mul_f32_e32 v104, 0xbf7ba420, v44
	v_mov_b32_e32 v106, v104
	v_add_f32_e32 v9, v9, v7
	v_add_f32_e32 v8, v8, v6
	v_fmac_f32_e32 v106, 0xbe3c28d5, v81
	v_add_f32_e32 v9, v35, v9
	v_add_f32_e32 v8, v34, v8
	v_mul_f32_e32 v35, 0xbf65296c, v80
	v_add_f32_e32 v106, v106, v105
	v_mul_f32_e32 v105, 0xbe8c1d8e, v46
	v_add_f32_e32 v9, v37, v9
	v_add_f32_e32 v8, v36, v8
	v_mov_b32_e32 v34, v35
	v_mul_f32_e32 v36, 0xbf4c4adb, v85
	v_mov_b32_e32 v107, v105
	v_fmac_f32_e32 v34, 0x3ee437d1, v38
	v_mov_b32_e32 v37, v36
	v_add_f32_e32 v9, v31, v9
	v_add_f32_e32 v8, v30, v8
	v_mul_f32_e32 v30, 0x3e3c28d5, v89
	v_fmac_f32_e32 v107, 0xbf763a35, v87
	v_add_f32_e32 v34, v34, v6
	v_fmac_f32_e32 v37, 0xbf1a4643, v39
	v_add_f32_e32 v33, v33, v9
	v_mov_b32_e32 v9, v30
	v_mul_f32_e32 v31, 0x3f763a35, v93
	v_add_f32_e32 v107, v107, v106
	v_mul_f32_e32 v106, 0x3f3d2fb0, v48
	v_add_f32_e32 v37, v37, v34
	v_add_f32_e32 v8, v32, v8
	v_fmac_f32_e32 v9, 0xbf7ba420, v41
	v_mov_b32_e32 v32, v31
	v_mov_b32_e32 v108, v106
	v_add_f32_e32 v9, v9, v37
	v_fmac_f32_e32 v32, 0xbe8c1d8e, v43
	v_fmac_f32_e32 v108, 0xbf2c7751, v91
	v_add_f32_e32 v9, v32, v9
	v_mul_f32_e32 v32, 0x3f2c7751, v96
	v_add_f32_e32 v108, v108, v107
	v_mul_f32_e32 v107, 0x3f6eb680, v50
	v_mov_b32_e32 v37, v32
	v_add_f32_e32 v27, v27, v33
	v_add_f32_e32 v8, v26, v8
	v_mul_f32_e32 v33, 0xbeb8f4ab, v98
	v_mov_b32_e32 v109, v107
	v_fmac_f32_e32 v37, 0x3f3d2fb0, v45
	v_add_f32_e32 v26, v28, v8
	v_mov_b32_e32 v8, v33
	v_fmac_f32_e32 v109, 0x3eb8f4ab, v94
	v_add_f32_e32 v37, v37, v9
	v_fmac_f32_e32 v8, 0x3f6eb680, v47
	v_add_f32_e32 v109, v109, v108
	v_mul_f32_e32 v108, 0x3dbcf732, v52
	v_add_f32_e32 v8, v8, v37
	v_mul_f32_e32 v37, 0xbf7ee86f, v100
	v_mov_b32_e32 v110, v108
	v_mul_f32_e32 v34, 0xbf59a7d5, v53
	v_mov_b32_e32 v28, v37
	v_fmac_f32_e32 v110, 0x3f7ee86f, v97
	v_mov_b32_e32 v9, v34
	v_fmac_f32_e32 v28, 0x3dbcf732, v49
	v_mul_f32_e32 v115, 0xbf06c442, v101
	v_add_f32_e32 v109, v110, v109
	v_fmac_f32_e32 v9, 0x3f06c442, v99
	v_add_f32_e32 v8, v28, v8
	v_mov_b32_e32 v28, v115
	v_add_f32_e32 v9, v9, v109
	v_fmac_f32_e32 v28, 0xbf59a7d5, v51
	v_mul_f32_e32 v109, 0xbf1a4643, v40
	v_add_f32_e32 v27, v29, v27
	v_add_f32_e32 v8, v28, v8
	v_mov_b32_e32 v28, v109
	v_add_f32_e32 v22, v22, v26
	v_mul_f32_e32 v110, 0xbe8c1d8e, v42
	v_fmac_f32_e32 v28, 0x3f4c4adb, v71
	v_add_f32_e32 v23, v23, v27
	v_add_f32_e32 v117, v24, v22
	v_mov_b32_e32 v22, v110
	v_mul_f32_e32 v111, 0x3f6eb680, v44
	v_add_f32_e32 v28, v28, v7
	v_add_f32_e32 v116, v25, v23
	v_fmac_f32_e32 v22, 0xbf763a35, v76
	v_mov_b32_e32 v23, v111
	v_add_f32_e32 v22, v22, v28
	v_fmac_f32_e32 v23, 0x3eb8f4ab, v81
	v_mul_f32_e32 v112, 0xbf59a7d5, v46
	v_add_f32_e32 v22, v23, v22
	v_mov_b32_e32 v23, v112
	v_fmac_f32_e32 v23, 0x3f06c442, v87
	v_mul_f32_e32 v113, 0x3dbcf732, v48
	v_add_f32_e32 v22, v23, v22
	v_mov_b32_e32 v23, v113
	v_fmac_f32_e32 v23, 0xbf7ee86f, v91
	v_mul_f32_e32 v114, 0x3f3d2fb0, v50
	v_add_f32_e32 v22, v23, v22
	v_mov_b32_e32 v23, v114
	v_fmac_f32_e32 v23, 0x3f2c7751, v94
	v_mul_f32_e32 v118, 0xbf7ba420, v52
	v_add_f32_e32 v22, v23, v22
	v_mov_b32_e32 v23, v118
	v_fmac_f32_e32 v23, 0x3e3c28d5, v97
	v_mul_f32_e32 v119, 0xbf4c4adb, v80
	v_add_f32_e32 v22, v23, v22
	v_mov_b32_e32 v23, v119
	v_mul_f32_e32 v120, 0x3f763a35, v85
	v_fmac_f32_e32 v23, 0xbf1a4643, v38
	v_mov_b32_e32 v24, v120
	v_add_f32_e32 v23, v23, v6
	v_fmac_f32_e32 v24, 0xbe8c1d8e, v39
	v_mul_f32_e32 v121, 0xbeb8f4ab, v89
	v_add_f32_e32 v23, v24, v23
	v_mov_b32_e32 v24, v121
	v_fmac_f32_e32 v24, 0x3f6eb680, v41
	v_mul_f32_e32 v122, 0xbf06c442, v93
	v_add_f32_e32 v23, v24, v23
	v_mov_b32_e32 v24, v122
	;; [unrolled: 4-line block ×8, first 2 shown]
	v_mul_f32_e32 v27, 0x3f6eb680, v42
	v_fmac_f32_e32 v24, 0x3e3c28d5, v71
	v_mov_b32_e32 v25, v27
	v_add_f32_e32 v24, v24, v7
	v_fmac_f32_e32 v25, 0xbeb8f4ab, v76
	v_mul_f32_e32 v28, 0xbf59a7d5, v44
	v_add_f32_e32 v24, v25, v24
	v_mov_b32_e32 v25, v28
	v_fmac_f32_e32 v25, 0x3f06c442, v81
	v_mul_f32_e32 v29, 0x3f3d2fb0, v46
	v_add_f32_e32 v24, v25, v24
	v_mov_b32_e32 v25, v29
	;; [unrolled: 4-line block ×6, first 2 shown]
	v_mul_f32_e32 v133, 0x3eb8f4ab, v85
	v_fmac_f32_e32 v25, 0xbf7ba420, v38
	v_mov_b32_e32 v134, v133
	v_add_f32_e32 v25, v25, v6
	v_fmac_f32_e32 v134, 0x3f6eb680, v39
	v_add_f32_e32 v25, v134, v25
	v_mul_f32_e32 v134, 0xbf06c442, v89
	v_mov_b32_e32 v137, v134
	v_fmac_f32_e32 v137, 0xbf59a7d5, v41
	v_add_f32_e32 v25, v137, v25
	v_mul_f32_e32 v137, 0x3f2c7751, v93
	v_mov_b32_e32 v138, v137
	;; [unrolled: 4-line block ×3, first 2 shown]
	v_fmac_f32_e32 v26, 0xbe3c28d5, v71
	v_fmac_f32_e32 v139, 0xbf1a4643, v45
	v_add_f32_e32 v26, v26, v7
	v_fmac_f32_e32 v27, 0x3eb8f4ab, v76
	v_add_f32_e32 v25, v139, v25
	v_mul_f32_e32 v139, 0x3f65296c, v98
	v_add_f32_e32 v26, v27, v26
	v_fmac_f32_e32 v28, 0xbf06c442, v81
	v_fma_f32 v27, v38, s17, -v132
	v_mov_b32_e32 v140, v139
	v_add_f32_e32 v26, v28, v26
	v_add_f32_e32 v27, v27, v6
	v_fma_f32 v28, v39, s6, -v133
	v_fmac_f32_e32 v140, 0x3ee437d1, v47
	v_fmac_f32_e32 v29, 0x3f2c7751, v87
	v_add_f32_e32 v27, v28, v27
	v_fma_f32 v28, v41, s19, -v134
	v_add_f32_e32 v25, v140, v25
	v_mul_f32_e32 v140, 0xbf763a35, v100
	v_add_f32_e32 v26, v29, v26
	v_fmac_f32_e32 v129, 0xbf4c4adb, v91
	v_add_f32_e32 v27, v28, v27
	v_fma_f32 v28, v43, s7, -v137
	v_mov_b32_e32 v141, v140
	v_add_f32_e32 v26, v129, v26
	v_fmac_f32_e32 v130, 0x3f65296c, v94
	v_add_f32_e32 v27, v28, v27
	v_fma_f32 v28, v45, s16, -v138
	v_fmac_f32_e32 v141, 0xbe8c1d8e, v49
	v_mul_f32_e32 v142, 0x3dbcf732, v53
	v_add_f32_e32 v26, v130, v26
	v_fmac_f32_e32 v131, 0xbf763a35, v97
	v_add_f32_e32 v27, v28, v27
	v_fma_f32 v28, v47, s15, -v139
	v_add_f32_e32 v141, v141, v25
	v_mov_b32_e32 v25, v142
	v_mul_f32_e32 v143, 0x3f7ee86f, v101
	v_add_f32_e32 v26, v131, v26
	v_add_f32_e32 v27, v28, v27
	v_fma_f32 v28, v49, s18, -v140
	v_fmac_f32_e32 v142, 0x3f7ee86f, v99
	v_add_f32_e32 v28, v28, v27
	v_add_f32_e32 v27, v142, v26
	v_fma_f32 v26, v51, s14, -v143
	v_mul_f32_e32 v129, 0xbf06c442, v71
	v_add_f32_e32 v26, v26, v28
	v_mov_b32_e32 v28, v129
	v_mul_f32_e32 v130, 0x3f65296c, v76
	v_fmac_f32_e32 v28, 0xbf59a7d5, v40
	v_mov_b32_e32 v29, v130
	v_add_f32_e32 v28, v28, v7
	v_fmac_f32_e32 v29, 0x3ee437d1, v42
	v_mul_f32_e32 v131, 0xbf7ee86f, v81
	v_add_f32_e32 v28, v29, v28
	v_mov_b32_e32 v29, v131
	v_fmac_f32_e32 v109, 0xbf4c4adb, v71
	v_fmac_f32_e32 v29, 0x3dbcf732, v44
	v_mul_f32_e32 v132, 0x3f4c4adb, v87
	v_add_f32_e32 v109, v109, v7
	v_fmac_f32_e32 v110, 0x3f763a35, v76
	v_add_f32_e32 v28, v29, v28
	v_mov_b32_e32 v29, v132
	v_add_f32_e32 v109, v110, v109
	v_fmac_f32_e32 v111, 0xbeb8f4ab, v81
	v_fma_f32 v110, v38, s16, -v119
	v_fmac_f32_e32 v29, 0xbf1a4643, v46
	v_mul_f32_e32 v133, 0xbeb8f4ab, v91
	v_add_f32_e32 v109, v111, v109
	v_add_f32_e32 v110, v110, v6
	v_fma_f32 v111, v39, s18, -v120
	v_add_f32_e32 v28, v29, v28
	v_mov_b32_e32 v29, v133
	v_fmac_f32_e32 v112, 0xbf06c442, v87
	v_add_f32_e32 v110, v111, v110
	v_fma_f32 v111, v41, s6, -v121
	v_fmac_f32_e32 v29, 0x3f6eb680, v48
	v_mul_f32_e32 v134, 0xbe3c28d5, v94
	v_add_f32_e32 v109, v112, v109
	v_fmac_f32_e32 v113, 0x3f7ee86f, v91
	v_add_f32_e32 v110, v111, v110
	v_fma_f32 v111, v43, s19, -v122
	v_add_f32_e32 v28, v29, v28
	v_mov_b32_e32 v29, v134
	v_add_f32_e32 v109, v113, v109
	v_fmac_f32_e32 v114, 0xbf2c7751, v94
	v_add_f32_e32 v110, v111, v110
	v_fma_f32 v111, v45, s14, -v123
	v_fmac_f32_e32 v29, 0xbf7ba420, v50
	v_mul_f32_e32 v137, 0x3f2c7751, v97
	v_add_f32_e32 v109, v114, v109
	v_fmac_f32_e32 v118, 0xbe3c28d5, v97
	v_add_f32_e32 v110, v111, v110
	v_fma_f32 v111, v47, s7, -v125
	v_add_f32_e32 v28, v29, v28
	v_mov_b32_e32 v29, v137
	v_add_f32_e32 v109, v118, v109
	v_add_f32_e32 v110, v111, v110
	v_fma_f32 v111, v49, s17, -v126
	v_fmac_f32_e32 v127, 0x3f65296c, v99
	v_fmac_f32_e32 v29, 0x3f3d2fb0, v52
	v_mul_f32_e32 v138, 0xbf06c442, v80
	v_add_f32_e32 v111, v111, v110
	v_add_f32_e32 v110, v127, v109
	v_fma_f32 v109, v51, s15, -v128
	v_mul_f32_e32 v118, 0xbf763a35, v71
	v_fmac_f32_e32 v25, 0xbf7ee86f, v99
	v_add_f32_e32 v28, v29, v28
	v_fma_f32 v29, v38, s19, -v138
	v_mul_f32_e32 v139, 0x3f65296c, v85
	v_add_f32_e32 v109, v109, v111
	v_mov_b32_e32 v111, v118
	v_mul_f32_e32 v119, 0x3f06c442, v76
	v_add_f32_e32 v25, v25, v24
	v_mov_b32_e32 v24, v143
	v_add_f32_e32 v29, v29, v6
	v_fma_f32 v140, v39, s15, -v139
	v_fmac_f32_e32 v111, 0xbe8c1d8e, v40
	v_mov_b32_e32 v112, v119
	v_fmac_f32_e32 v24, 0x3dbcf732, v51
	v_add_f32_e32 v29, v140, v29
	v_mul_f32_e32 v140, 0xbf7ee86f, v89
	v_add_f32_e32 v111, v111, v7
	v_fmac_f32_e32 v112, 0xbf59a7d5, v42
	v_mul_f32_e32 v120, 0x3f2c7751, v81
	v_add_f32_e32 v24, v24, v141
	v_fma_f32 v141, v41, s14, -v140
	v_add_f32_e32 v111, v112, v111
	v_mov_b32_e32 v112, v120
	v_add_f32_e32 v29, v141, v29
	v_mul_f32_e32 v141, 0x3f4c4adb, v93
	v_fmac_f32_e32 v112, 0x3f3d2fb0, v44
	v_mul_f32_e32 v121, 0xbf65296c, v87
	v_fma_f32 v142, v43, s16, -v141
	v_add_f32_e32 v111, v112, v111
	v_mov_b32_e32 v112, v121
	v_add_f32_e32 v29, v142, v29
	v_mul_f32_e32 v142, 0xbeb8f4ab, v96
	v_fmac_f32_e32 v112, 0x3ee437d1, v46
	v_mul_f32_e32 v122, 0xbe3c28d5, v91
	v_fma_f32 v143, v45, s6, -v142
	v_add_f32_e32 v111, v112, v111
	v_mov_b32_e32 v112, v122
	v_fmac_f32_e32 v102, 0xbf65296c, v71
	v_fma_f32 v35, v38, s15, -v35
	v_add_f32_e32 v29, v143, v29
	v_mul_f32_e32 v143, 0xbe3c28d5, v98
	v_fmac_f32_e32 v112, 0xbf7ba420, v48
	v_mul_f32_e32 v123, 0x3f7ee86f, v94
	v_mul_f32_e32 v153, 0xbf7ee86f, v71
	v_fmac_f32_e32 v103, 0xbf4c4adb, v76
	v_add_f32_e32 v71, v102, v7
	v_add_f32_e32 v35, v35, v6
	v_fma_f32 v36, v39, s16, -v36
	v_fma_f32 v144, v47, s17, -v143
	v_add_f32_e32 v111, v112, v111
	v_mov_b32_e32 v112, v123
	v_add_f32_e32 v71, v103, v71
	v_fmac_f32_e32 v104, 0x3e3c28d5, v81
	v_add_f32_e32 v35, v36, v35
	v_fma_f32 v30, v41, s17, -v30
	v_add_f32_e32 v29, v144, v29
	v_mul_f32_e32 v144, 0x3f2c7751, v100
	v_fmac_f32_e32 v112, 0x3dbcf732, v50
	v_mul_f32_e32 v125, 0xbeb8f4ab, v97
	v_add_f32_e32 v71, v104, v71
	v_fmac_f32_e32 v105, 0x3f763a35, v87
	v_add_f32_e32 v30, v30, v35
	v_fma_f32 v31, v43, s18, -v31
	v_fma_f32 v145, v49, s7, -v144
	v_mul_f32_e32 v146, 0xbf763a35, v99
	v_add_f32_e32 v111, v112, v111
	v_mov_b32_e32 v112, v125
	v_add_f32_e32 v71, v105, v71
	v_fmac_f32_e32 v106, 0x3f2c7751, v91
	v_add_f32_e32 v30, v31, v30
	v_fma_f32 v31, v45, s7, -v32
	v_add_f32_e32 v145, v145, v29
	v_mov_b32_e32 v29, v146
	v_fmac_f32_e32 v112, 0x3f6eb680, v52
	v_mul_f32_e32 v126, 0xbf763a35, v80
	v_add_f32_e32 v71, v106, v71
	v_fmac_f32_e32 v107, 0xbeb8f4ab, v94
	v_add_f32_e32 v30, v31, v30
	v_fma_f32 v31, v47, s6, -v33
	v_fmac_f32_e32 v29, 0xbe8c1d8e, v53
	v_mul_f32_e32 v147, 0xbf763a35, v101
	v_add_f32_e32 v111, v112, v111
	v_fma_f32 v112, v38, s18, -v126
	v_mul_f32_e32 v127, 0x3f06c442, v85
	v_add_f32_e32 v71, v107, v71
	v_fmac_f32_e32 v108, 0xbf7ee86f, v97
	v_add_f32_e32 v30, v31, v30
	v_fma_f32 v31, v49, s14, -v37
	v_add_f32_e32 v29, v29, v28
	v_fma_f32 v28, v51, s18, -v147
	;; [unrolled: 2-line block ×3, first 2 shown]
	v_mul_f32_e32 v128, 0x3f2c7751, v89
	v_add_f32_e32 v71, v108, v71
	v_fmac_f32_e32 v34, 0xbf06c442, v99
	v_add_f32_e32 v30, v31, v30
	v_fma_f32 v32, v51, s19, -v115
	v_add_f32_e32 v28, v28, v145
	v_add_f32_e32 v112, v113, v112
	v_fma_f32 v113, v41, s7, -v128
	v_mul_f32_e32 v145, 0xbf65296c, v93
	v_add_f32_e32 v31, v34, v71
	v_add_f32_e32 v30, v32, v30
	v_mul_f32_e32 v32, 0x3f3d2fb0, v40
	v_mul_f32_e32 v34, 0x3f3d2fb0, v38
	v_add_f32_e32 v112, v113, v112
	v_fma_f32 v113, v43, s15, -v145
	v_mul_f32_e32 v148, 0xbe3c28d5, v96
	v_add_f32_e32 v32, v65, v32
	v_mul_f32_e32 v33, 0x3dbcf732, v42
	v_sub_f32_e32 v34, v34, v60
	v_mul_f32_e32 v35, 0x3dbcf732, v39
	v_add_f32_e32 v112, v113, v112
	v_fma_f32 v113, v45, s17, -v148
	v_mul_f32_e32 v149, 0x3f7ee86f, v98
	v_add_f32_e32 v33, v69, v33
	v_add_f32_e32 v32, v32, v7
	v_sub_f32_e32 v35, v35, v63
	v_add_f32_e32 v34, v34, v6
	v_add_f32_e32 v112, v113, v112
	v_fma_f32 v113, v47, s14, -v149
	v_mul_f32_e32 v150, 0xbeb8f4ab, v100
	v_add_f32_e32 v32, v33, v32
	v_mul_f32_e32 v33, 0xbf1a4643, v44
	v_add_f32_e32 v34, v35, v34
	;; [unrolled: 2-line block ×3, first 2 shown]
	v_fma_f32 v113, v49, s6, -v150
	v_mul_f32_e32 v151, 0xbf4c4adb, v99
	v_add_f32_e32 v33, v75, v33
	v_sub_f32_e32 v35, v35, v67
	v_add_f32_e32 v113, v113, v112
	v_mov_b32_e32 v112, v151
	v_add_f32_e32 v32, v33, v32
	v_mul_f32_e32 v33, 0xbf7ba420, v46
	v_add_f32_e32 v34, v35, v34
	v_mul_f32_e32 v35, 0xbf7ba420, v43
	v_fmac_f32_e32 v112, 0xbf1a4643, v53
	v_mul_f32_e32 v152, 0xbf4c4adb, v101
	v_add_f32_e32 v33, v79, v33
	v_sub_f32_e32 v35, v35, v72
	v_add_f32_e32 v112, v112, v111
	v_fma_f32 v111, v51, s16, -v152
	v_add_f32_e32 v32, v33, v32
	v_mul_f32_e32 v33, 0xbf59a7d5, v48
	v_add_f32_e32 v34, v35, v34
	v_mul_f32_e32 v35, 0xbf59a7d5, v45
	v_add_f32_e32 v111, v111, v113
	v_mov_b32_e32 v113, v153
	v_mul_f32_e32 v154, 0xbe3c28d5, v76
	v_add_f32_e32 v33, v84, v33
	v_sub_f32_e32 v35, v35, v78
	v_fmac_f32_e32 v113, 0x3dbcf732, v40
	v_mov_b32_e32 v114, v154
	v_add_f32_e32 v32, v33, v32
	v_mul_f32_e32 v33, 0xbe8c1d8e, v50
	v_add_f32_e32 v34, v35, v34
	v_mul_f32_e32 v35, 0xbe8c1d8e, v47
	v_add_f32_e32 v113, v113, v7
	v_fmac_f32_e32 v114, 0xbf7ba420, v42
	v_mul_f32_e32 v155, 0x3f763a35, v81
	v_add_f32_e32 v33, v88, v33
	v_sub_f32_e32 v35, v35, v83
	v_add_f32_e32 v10, v10, v117
	v_add_f32_e32 v113, v114, v113
	v_mov_b32_e32 v114, v155
	v_add_f32_e32 v32, v33, v32
	v_mul_f32_e32 v33, 0x3ee437d1, v52
	v_add_f32_e32 v34, v35, v34
	v_mul_f32_e32 v35, 0x3ee437d1, v49
	v_add_f32_e32 v11, v11, v116
	v_add_f32_e32 v10, v12, v10
	v_fmac_f32_e32 v114, 0xbe8c1d8e, v44
	v_mul_f32_e32 v156, 0x3eb8f4ab, v87
	v_add_f32_e32 v33, v92, v33
	v_sub_f32_e32 v35, v35, v86
	v_add_f32_e32 v11, v13, v11
	v_add_f32_e32 v10, v14, v10
	;; [unrolled: 1-line block ×3, first 2 shown]
	v_mov_b32_e32 v114, v156
	v_add_f32_e32 v32, v33, v32
	v_mul_f32_e32 v33, 0x3f6eb680, v53
	v_add_f32_e32 v34, v35, v34
	v_mul_f32_e32 v35, 0x3f6eb680, v51
	v_add_f32_e32 v11, v15, v11
	v_add_f32_e32 v10, v16, v10
	v_fmac_f32_e32 v114, 0x3f6eb680, v46
	v_mul_f32_e32 v157, 0xbf65296c, v91
	v_add_f32_e32 v33, v95, v33
	v_sub_f32_e32 v35, v35, v90
	v_add_f32_e32 v11, v17, v11
	v_add_f32_e32 v10, v18, v10
	;; [unrolled: 1-line block ×3, first 2 shown]
	v_mov_b32_e32 v114, v157
	v_add_f32_e32 v33, v33, v32
	v_add_f32_e32 v32, v35, v34
	v_mul_f32_e32 v34, 0x3f6eb680, v40
	v_mul_f32_e32 v36, 0x3f6eb680, v38
	v_add_f32_e32 v11, v19, v11
	v_add_f32_e32 v10, v20, v10
	v_fmac_f32_e32 v114, 0x3ee437d1, v48
	v_mul_f32_e32 v158, 0xbf06c442, v94
	v_add_f32_e32 v34, v56, v34
	v_mul_f32_e32 v35, 0x3f3d2fb0, v42
	v_sub_f32_e32 v36, v36, v54
	v_mul_f32_e32 v37, 0x3f3d2fb0, v39
	v_add_f32_e32 v11, v21, v11
	v_add_f32_e32 v0, v0, v10
	v_fma_f32 v10, v40, s19, -v129
	v_fma_f32 v12, v40, s18, -v118
	v_add_f32_e32 v113, v114, v113
	v_mov_b32_e32 v114, v158
	v_add_f32_e32 v35, v58, v35
	v_add_f32_e32 v34, v34, v7
	v_sub_f32_e32 v37, v37, v55
	v_add_f32_e32 v36, v36, v6
	v_add_f32_e32 v1, v1, v11
	;; [unrolled: 1-line block ×3, first 2 shown]
	v_fma_f32 v11, v42, s15, -v130
	v_add_f32_e32 v12, v12, v7
	v_fma_f32 v13, v42, s19, -v119
	v_fmac_f32_e32 v114, 0xbf59a7d5, v50
	v_mul_f32_e32 v159, 0x3f4c4adb, v97
	v_add_f32_e32 v34, v35, v34
	v_mul_f32_e32 v35, 0x3ee437d1, v44
	v_add_f32_e32 v36, v37, v36
	;; [unrolled: 2-line block ×3, first 2 shown]
	v_fma_f32 v11, v44, s14, -v131
	v_add_f32_e32 v12, v13, v12
	v_fma_f32 v13, v44, s7, -v120
	v_add_f32_e32 v113, v114, v113
	v_mov_b32_e32 v114, v159
	v_add_f32_e32 v35, v61, v35
	v_sub_f32_e32 v37, v37, v57
	v_add_f32_e32 v10, v11, v10
	v_fma_f32 v11, v46, s16, -v132
	v_add_f32_e32 v12, v13, v12
	v_fma_f32 v13, v46, s15, -v121
	v_fmac_f32_e32 v114, 0xbf1a4643, v52
	v_mul_f32_e32 v80, 0xbf7ee86f, v80
	v_add_f32_e32 v34, v35, v34
	v_mul_f32_e32 v35, 0x3dbcf732, v46
	v_add_f32_e32 v36, v37, v36
	;; [unrolled: 2-line block ×3, first 2 shown]
	v_fma_f32 v11, v48, s6, -v133
	v_add_f32_e32 v12, v13, v12
	v_fma_f32 v13, v48, s17, -v122
	v_add_f32_e32 v113, v114, v113
	v_fma_f32 v114, v38, s14, -v80
	v_mul_f32_e32 v85, 0xbe3c28d5, v85
	v_add_f32_e32 v35, v64, v35
	v_sub_f32_e32 v37, v37, v59
	v_add_f32_e32 v10, v11, v10
	v_fma_f32 v11, v50, s17, -v134
	v_add_f32_e32 v12, v13, v12
	v_fma_f32 v13, v50, s14, -v123
	v_fma_f32 v14, v40, s14, -v153
	v_add_f32_e32 v114, v114, v6
	v_fma_f32 v160, v39, s17, -v85
	v_mul_f32_e32 v89, 0x3f763a35, v89
	v_add_f32_e32 v34, v35, v34
	v_mul_f32_e32 v35, 0xbe8c1d8e, v48
	v_add_f32_e32 v36, v37, v36
	;; [unrolled: 2-line block ×3, first 2 shown]
	v_fma_f32 v11, v52, s7, -v137
	v_add_f32_e32 v12, v13, v12
	v_fma_f32 v13, v52, s6, -v125
	v_add_f32_e32 v7, v14, v7
	;; [unrolled: 2-line block ×3, first 2 shown]
	v_fma_f32 v160, v41, s18, -v89
	v_mul_f32_e32 v93, 0x3eb8f4ab, v93
	v_add_f32_e32 v35, v68, v35
	v_sub_f32_e32 v37, v37, v62
	v_add_f32_e32 v10, v11, v10
	v_fma_f32 v11, v53, s18, -v146
	v_fmac_f32_e32 v138, 0xbf59a7d5, v38
	v_add_f32_e32 v12, v13, v12
	v_fma_f32 v13, v53, s16, -v151
	v_fmac_f32_e32 v126, 0xbe8c1d8e, v38
	;; [unrolled: 3-line block ×3, first 2 shown]
	v_add_f32_e32 v114, v160, v114
	v_fma_f32 v160, v43, s6, -v93
	v_mul_f32_e32 v96, 0xbf65296c, v96
	v_add_f32_e32 v34, v35, v34
	v_mul_f32_e32 v35, 0xbf1a4643, v50
	v_add_f32_e32 v36, v37, v36
	;; [unrolled: 2-line block ×3, first 2 shown]
	v_add_f32_e32 v10, v138, v6
	v_fmac_f32_e32 v139, 0x3ee437d1, v39
	v_add_f32_e32 v13, v13, v12
	v_add_f32_e32 v12, v126, v6
	v_fmac_f32_e32 v127, 0xbf59a7d5, v39
	v_add_f32_e32 v7, v14, v7
	v_fma_f32 v14, v46, s6, -v156
	v_add_f32_e32 v6, v80, v6
	v_fmac_f32_e32 v85, 0xbf7ba420, v39
	v_add_f32_e32 v114, v160, v114
	v_fma_f32 v160, v45, s15, -v96
	v_mul_f32_e32 v98, 0xbf06c442, v98
	v_add_f32_e32 v35, v73, v35
	v_sub_f32_e32 v37, v37, v66
	v_add_f32_e32 v10, v139, v10
	v_fmac_f32_e32 v140, 0x3dbcf732, v41
	v_add_f32_e32 v12, v127, v12
	v_fmac_f32_e32 v128, 0x3f3d2fb0, v41
	v_add_f32_e32 v7, v14, v7
	v_fma_f32 v14, v48, s15, -v157
	v_add_f32_e32 v6, v85, v6
	v_fmac_f32_e32 v89, 0xbe8c1d8e, v41
	v_add_f32_e32 v114, v160, v114
	v_fma_f32 v160, v47, s19, -v98
	v_mul_f32_e32 v100, 0x3f4c4adb, v100
	v_add_f32_e32 v34, v35, v34
	v_mul_f32_e32 v35, 0xbf59a7d5, v52
	v_add_f32_e32 v36, v37, v36
	;; [unrolled: 2-line block ×3, first 2 shown]
	v_fmac_f32_e32 v141, 0xbf1a4643, v43
	v_add_f32_e32 v12, v128, v12
	v_fmac_f32_e32 v145, 0x3ee437d1, v43
	v_add_f32_e32 v7, v14, v7
	v_fma_f32 v14, v50, s19, -v158
	v_add_f32_e32 v6, v89, v6
	v_fmac_f32_e32 v93, 0x3f6eb680, v43
	v_add_f32_e32 v114, v160, v114
	v_fma_f32 v160, v49, s16, -v100
	v_mul_f32_e32 v161, 0x3f2c7751, v99
	v_add_f32_e32 v35, v77, v35
	v_sub_f32_e32 v37, v37, v70
	v_add_f32_e32 v10, v141, v10
	v_fmac_f32_e32 v142, 0x3f6eb680, v45
	v_add_f32_e32 v12, v145, v12
	v_fmac_f32_e32 v148, 0xbf7ba420, v45
	v_add_f32_e32 v7, v14, v7
	v_fma_f32 v14, v52, s16, -v159
	v_add_f32_e32 v6, v93, v6
	v_fmac_f32_e32 v96, 0x3ee437d1, v45
	v_add_f32_e32 v160, v160, v114
	v_mov_b32_e32 v114, v161
	v_add_f32_e32 v34, v35, v34
	v_mul_f32_e32 v35, 0xbf7ba420, v53
	v_add_f32_e32 v36, v37, v36
	v_mul_f32_e32 v37, 0xbf7ba420, v51
	v_add_f32_e32 v10, v142, v10
	v_fmac_f32_e32 v143, 0xbf7ba420, v47
	v_add_f32_e32 v12, v148, v12
	v_fmac_f32_e32 v149, 0x3dbcf732, v47
	v_add_f32_e32 v7, v14, v7
	v_fma_f32 v14, v53, s7, -v161
	v_add_f32_e32 v6, v96, v6
	v_fmac_f32_e32 v98, 0xbf59a7d5, v47
	v_fmac_f32_e32 v114, 0x3f3d2fb0, v53
	v_mul_f32_e32 v101, 0x3f2c7751, v101
	v_add_f32_e32 v35, v82, v35
	v_sub_f32_e32 v37, v37, v74
	v_add_f32_e32 v10, v143, v10
	v_fmac_f32_e32 v144, 0x3f3d2fb0, v49
	v_add_f32_e32 v12, v149, v12
	v_fmac_f32_e32 v150, 0x3f6eb680, v49
	v_add_f32_e32 v7, v14, v7
	v_add_f32_e32 v6, v98, v6
	v_fmac_f32_e32 v100, 0xbf1a4643, v49
	v_mul_lo_u16_e32 v14, 17, v136
	v_add_f32_e32 v114, v114, v113
	v_fma_f32 v113, v51, s7, -v101
	v_add_f32_e32 v35, v35, v34
	v_add_f32_e32 v34, v37, v36
	;; [unrolled: 1-line block ×3, first 2 shown]
	v_fmac_f32_e32 v147, 0xbe8c1d8e, v51
	v_add_f32_e32 v12, v150, v12
	v_fmac_f32_e32 v152, 0xbf1a4643, v51
	v_add_f32_e32 v6, v100, v6
	v_fmac_f32_e32 v101, 0x3f3d2fb0, v51
	v_lshlrev_b32_e32 v14, 3, v14
	v_add_f32_e32 v113, v113, v160
	v_add_f32_e32 v10, v147, v10
	;; [unrolled: 1-line block ×4, first 2 shown]
	ds_write2_b64 v14, v[0:1], v[34:35] offset1:1
	ds_write2_b64 v14, v[32:33], v[30:31] offset0:2 offset1:3
	ds_write2_b64 v14, v[113:114], v[111:112] offset0:4 offset1:5
	;; [unrolled: 1-line block ×7, first 2 shown]
	ds_write_b64 v14, v[4:5] offset:128
.LBB0_7:
	s_or_b64 exec, exec, s[4:5]
	s_load_dwordx4 s[4:7], s[2:3], 0x0
	s_movk_i32 s2, 0xf1
	v_mul_lo_u16_sdwa v0, v136, s2 dst_sel:DWORD dst_unused:UNUSED_PAD src0_sel:BYTE_0 src1_sel:DWORD
	v_add_u16_e32 v61, 0x77, v136
	v_lshrrev_b16_e32 v19, 12, v0
	v_mul_lo_u16_sdwa v1, v61, s2 dst_sel:DWORD dst_unused:UNUSED_PAD src0_sel:BYTE_0 src1_sel:DWORD
	v_mul_lo_u16_e32 v0, 17, v19
	v_lshrrev_b16_e32 v62, 12, v1
	v_sub_u16_e32 v0, v136, v0
	v_mul_lo_u16_e32 v1, 17, v62
	v_and_b32_e32 v60, 0xff, v0
	v_sub_u16_e32 v1, v61, v1
	v_add_co_u32_e32 v8, vcc, 0xee, v136
	v_lshlrev_b32_e32 v0, 4, v60
	v_and_b32_e32 v63, 0xff, v1
	s_mov_b32 s2, 0xf0f1
	s_waitcnt lgkmcnt(0)
	s_barrier
	v_lshlrev_b32_e32 v1, 4, v63
	global_load_dwordx4 v[24:27], v0, s[12:13]
	global_load_dwordx4 v[20:23], v1, s[12:13]
	v_mul_u32_u24_sdwa v0, v8, s2 dst_sel:DWORD dst_unused:UNUSED_PAD src0_sel:WORD_0 src1_sel:DWORD
	v_lshrrev_b32_e32 v64, 20, v0
	v_mul_lo_u16_e32 v0, 17, v64
	v_sub_u16_e32 v65, v8, v0
	v_lshlrev_b16_e32 v0, 1, v65
	v_lshlrev_b32_e32 v0, 3, v0
	s_movk_i32 s3, 0x165
	global_load_dwordx4 v[28:31], v0, s[12:13]
	v_add_co_u32_e32 v0, vcc, s3, v136
	v_mul_u32_u24_sdwa v1, v0, s2 dst_sel:DWORD dst_unused:UNUSED_PAD src0_sel:WORD_0 src1_sel:DWORD
	v_lshrrev_b32_e32 v66, 20, v1
	v_mul_lo_u16_e32 v1, 17, v66
	v_sub_u16_e32 v67, v0, v1
	v_lshlrev_b16_e32 v0, 1, v67
	s_movk_i32 s3, 0x1dc
	v_lshlrev_b32_e32 v0, 3, v0
	global_load_dwordx4 v[32:35], v0, s[12:13]
	v_add_co_u32_e32 v0, vcc, s3, v136
	v_mul_u32_u24_sdwa v1, v0, s2 dst_sel:DWORD dst_unused:UNUSED_PAD src0_sel:WORD_0 src1_sel:DWORD
	v_lshrrev_b32_e32 v68, 20, v1
	v_mul_lo_u16_e32 v1, 17, v68
	v_sub_u16_e32 v69, v0, v1
	v_lshlrev_b16_e32 v0, 1, v69
	v_lshlrev_b32_e32 v0, 3, v0
	global_load_dwordx4 v[36:39], v0, s[12:13]
	v_mov_b32_e32 v0, 3
	v_lshlrev_b32_sdwa v137, v0, v136 dst_sel:DWORD dst_unused:UNUSED_PAD src0_sel:DWORD src1_sel:WORD_0
	ds_read2_b64 v[9:12], v137 offset1:119
	v_add_u32_e32 v131, 0xc00, v137
	v_add_u32_e32 v127, 0x2400, v137
	;; [unrolled: 1-line block ×6, first 2 shown]
	ds_read_b64 v[0:1], v137 offset:13328
	ds_read2_b64 v[13:16], v131 offset0:92 offset1:211
	ds_read2_b64 v[40:43], v127 offset0:38 offset1:157
	ds_read2_b64 v[44:47], v129 offset0:74 offset1:193
	ds_read2_b64 v[48:51], v132 offset0:110 offset1:229
	ds_read2_b64 v[52:55], v128 offset0:20 offset1:139
	ds_read2_b64 v[56:59], v130 offset0:56 offset1:175
	v_mul_u32_u24_e32 v19, 51, v19
	v_add_lshl_u32 v138, v19, v60, 3
	s_waitcnt vmcnt(0) lgkmcnt(0)
	s_barrier
	s_movk_i32 s2, 0xa1
                                        ; implicit-def: $vgpr118
                                        ; implicit-def: $vgpr120
	v_mul_f32_e32 v6, v16, v25
	v_mul_f32_e32 v7, v15, v25
	;; [unrolled: 1-line block ×3, first 2 shown]
	v_fma_f32 v15, v15, v24, -v6
	v_mul_f32_e32 v17, v41, v27
	v_mul_f32_e32 v70, v45, v21
	v_fmac_f32_e32 v71, v45, v20
	v_fmac_f32_e32 v7, v16, v24
	v_fma_f32 v16, v40, v26, -v17
	v_mul_f32_e32 v77, v52, v31
	v_mul_f32_e32 v74, v47, v29
	;; [unrolled: 1-line block ×3, first 2 shown]
	v_fmac_f32_e32 v77, v53, v30
	v_mul_f32_e32 v75, v46, v29
	v_fma_f32 v45, v46, v28, -v74
	v_fma_f32 v46, v52, v30, -v76
	v_mul_f32_e32 v18, v40, v27
	v_fmac_f32_e32 v18, v41, v26
	v_mul_f32_e32 v72, v43, v23
	v_mul_f32_e32 v6, v57, v33
	v_mul_f32_e32 v53, v56, v33
	v_fma_f32 v52, v56, v32, -v6
	v_fmac_f32_e32 v53, v57, v32
	v_mul_f32_e32 v6, v55, v35
	v_fma_f32 v56, v54, v34, -v6
	v_mul_f32_e32 v54, v54, v35
	v_fmac_f32_e32 v54, v55, v34
	v_fma_f32 v40, v44, v20, -v70
	v_mul_f32_e32 v57, v58, v37
	v_mul_f32_e32 v6, v59, v37
	v_fmac_f32_e32 v57, v59, v36
	v_mul_f32_e32 v59, v0, v39
	v_fma_f32 v55, v58, v36, -v6
	v_mul_f32_e32 v6, v1, v39
	v_fmac_f32_e32 v59, v1, v38
	v_add_f32_e32 v1, v15, v16
	v_fma_f32 v58, v0, v38, -v6
	v_fma_f32 v6, -0.5, v1, v9
	v_add_f32_e32 v0, v9, v15
	v_sub_f32_e32 v1, v7, v18
	v_mov_b32_e32 v9, v6
	v_fmac_f32_e32 v9, 0x3f5db3d7, v1
	v_fmac_f32_e32 v6, 0xbf5db3d7, v1
	v_add_f32_e32 v1, v10, v7
	v_add_f32_e32 v7, v7, v18
	v_fma_f32 v41, v42, v22, -v72
	v_fma_f32 v7, -0.5, v7, v10
	v_mul_f32_e32 v73, v42, v23
	v_add_f32_e32 v0, v0, v16
	v_sub_f32_e32 v15, v15, v16
	v_mov_b32_e32 v10, v7
	v_add_f32_e32 v16, v40, v41
	v_fmac_f32_e32 v73, v43, v22
	v_fmac_f32_e32 v10, 0xbf5db3d7, v15
	;; [unrolled: 1-line block ×3, first 2 shown]
	v_add_f32_e32 v15, v11, v40
	v_fma_f32 v11, -0.5, v16, v11
	v_add_f32_e32 v1, v1, v18
	v_sub_f32_e32 v16, v71, v73
	v_mov_b32_e32 v17, v11
	v_add_f32_e32 v18, v71, v73
	v_fmac_f32_e32 v75, v47, v28
	v_fmac_f32_e32 v17, 0x3f5db3d7, v16
	;; [unrolled: 1-line block ×3, first 2 shown]
	v_add_f32_e32 v16, v12, v71
	v_fmac_f32_e32 v12, -0.5, v18
	v_sub_f32_e32 v40, v40, v41
	v_mov_b32_e32 v18, v12
	v_add_f32_e32 v43, v75, v77
	v_add_f32_e32 v15, v15, v41
	v_fmac_f32_e32 v18, 0xbf5db3d7, v40
	v_fmac_f32_e32 v12, 0x3f5db3d7, v40
	v_add_f32_e32 v40, v48, v45
	v_add_f32_e32 v41, v45, v46
	v_fma_f32 v43, -0.5, v43, v49
	v_add_f32_e32 v40, v40, v46
	v_fma_f32 v42, -0.5, v41, v48
	v_sub_f32_e32 v46, v45, v46
	v_mov_b32_e32 v45, v43
	v_add_f32_e32 v47, v52, v56
	ds_write2_b64 v138, v[0:1], v[9:10] offset1:17
	ds_write_b64 v138, v[6:7] offset:272
	v_mul_u32_u24_e32 v0, 51, v62
	v_sub_f32_e32 v41, v75, v77
	v_mov_b32_e32 v44, v42
	v_fmac_f32_e32 v45, 0xbf5db3d7, v46
	v_fmac_f32_e32 v43, 0x3f5db3d7, v46
	v_add_f32_e32 v46, v50, v52
	v_fma_f32 v50, -0.5, v47, v50
	v_add_lshl_u32 v139, v0, v63, 3
	v_mad_legacy_u16 v0, v64, 51, v65
	v_fmac_f32_e32 v44, 0x3f5db3d7, v41
	v_fmac_f32_e32 v42, 0xbf5db3d7, v41
	v_add_f32_e32 v41, v49, v75
	v_sub_f32_e32 v47, v53, v54
	v_mov_b32_e32 v48, v50
	v_add_f32_e32 v49, v53, v54
	v_lshlrev_b32_e32 v140, 3, v0
	v_mad_legacy_u16 v0, v66, 51, v67
	v_fmac_f32_e32 v48, 0x3f5db3d7, v47
	v_fmac_f32_e32 v50, 0xbf5db3d7, v47
	v_add_f32_e32 v47, v51, v53
	v_fmac_f32_e32 v51, -0.5, v49
	v_lshlrev_b32_e32 v141, 3, v0
	v_mad_legacy_u16 v0, v68, 51, v69
	v_sub_f32_e32 v52, v52, v56
	v_mov_b32_e32 v49, v51
	v_add_f32_e32 v53, v55, v58
	v_lshlrev_b32_e32 v142, 3, v0
	v_mul_lo_u16_sdwa v0, v136, s2 dst_sel:DWORD dst_unused:UNUSED_PAD src0_sel:BYTE_0 src1_sel:DWORD
	v_fmac_f32_e32 v49, 0xbf5db3d7, v52
	v_fmac_f32_e32 v51, 0x3f5db3d7, v52
	v_add_f32_e32 v52, v13, v55
	v_fma_f32 v13, -0.5, v53, v13
	v_lshrrev_b16_e32 v19, 13, v0
	v_add_f32_e32 v46, v46, v56
	v_add_f32_e32 v47, v47, v54
	v_sub_f32_e32 v53, v57, v59
	v_mov_b32_e32 v54, v13
	v_add_f32_e32 v56, v57, v59
	v_mul_lo_u16_e32 v0, 51, v19
	v_fmac_f32_e32 v54, 0x3f5db3d7, v53
	v_fmac_f32_e32 v13, 0xbf5db3d7, v53
	v_add_f32_e32 v53, v14, v57
	v_fmac_f32_e32 v14, -0.5, v56
	v_sub_u16_e32 v0, v136, v0
	v_sub_f32_e32 v56, v55, v58
	v_mov_b32_e32 v55, v14
	v_and_b32_e32 v84, 0xff, v0
	v_add_f32_e32 v16, v16, v73
	v_add_f32_e32 v41, v41, v77
	;; [unrolled: 1-line block ×4, first 2 shown]
	v_fmac_f32_e32 v55, 0xbf5db3d7, v56
	v_lshlrev_b32_e32 v0, 5, v84
	v_fmac_f32_e32 v14, 0x3f5db3d7, v56
	ds_write2_b64 v139, v[15:16], v[17:18] offset1:17
	ds_write_b64 v139, v[11:12] offset:272
	ds_write2_b64 v140, v[40:41], v[44:45] offset1:17
	ds_write_b64 v140, v[42:43] offset:272
	;; [unrolled: 2-line block ×4, first 2 shown]
	s_waitcnt lgkmcnt(0)
	s_barrier
	global_load_dwordx4 v[44:47], v0, s[12:13] offset:272
	global_load_dwordx4 v[40:43], v0, s[12:13] offset:288
	v_mul_lo_u16_sdwa v0, v61, s2 dst_sel:DWORD dst_unused:UNUSED_PAD src0_sel:BYTE_0 src1_sel:DWORD
	v_lshrrev_b16_e32 v85, 13, v0
	v_mul_lo_u16_e32 v0, 51, v85
	v_sub_u16_e32 v0, v61, v0
	v_and_b32_e32 v86, 0xff, v0
	v_lshlrev_b32_e32 v0, 5, v86
	s_mov_b32 s2, 0xa0a1
	global_load_dwordx4 v[52:55], v0, s[12:13] offset:272
	global_load_dwordx4 v[48:51], v0, s[12:13] offset:288
	v_mul_u32_u24_sdwa v0, v8, s2 dst_sel:DWORD dst_unused:UNUSED_PAD src0_sel:WORD_0 src1_sel:DWORD
	v_lshrrev_b32_e32 v87, 21, v0
	v_mul_lo_u16_e32 v0, 51, v87
	v_sub_u16_e32 v88, v8, v0
	v_lshlrev_b16_e32 v0, 5, v88
	v_mov_b32_e32 v1, s13
	v_add_co_u32_e32 v0, vcc, s12, v0
	v_addc_co_u32_e32 v1, vcc, 0, v1, vcc
	global_load_dwordx4 v[60:63], v[0:1], off offset:272
	global_load_dwordx4 v[56:59], v[0:1], off offset:288
	ds_read2_b64 v[9:12], v137 offset1:119
	ds_read2_b64 v[13:16], v132 offset0:110 offset1:229
	ds_read2_b64 v[64:67], v129 offset0:74 offset1:193
	;; [unrolled: 1-line block ×6, first 2 shown]
	ds_read_b64 v[0:1], v137 offset:13328
	v_mul_u32_u24_e32 v19, 0xff, v19
	v_add_lshl_u32 v143, v19, v84, 3
	s_movk_i32 s2, 0xff
	s_waitcnt vmcnt(0) lgkmcnt(0)
	s_barrier
	v_mul_f32_e32 v6, v16, v45
	v_fma_f32 v18, v15, v44, -v6
	v_mul_f32_e32 v6, v65, v47
	v_fma_f32 v90, v64, v46, -v6
	v_mul_f32_e32 v91, v64, v47
	v_mul_f32_e32 v6, v71, v41
	v_fmac_f32_e32 v91, v65, v46
	v_fma_f32 v65, v70, v40, -v6
	v_mul_f32_e32 v70, v70, v41
	v_mul_f32_e32 v6, v73, v43
	v_fmac_f32_e32 v70, v71, v40
	;; [unrolled: 4-line block ×4, first 2 shown]
	v_fma_f32 v77, v66, v54, -v6
	v_mul_f32_e32 v6, v81, v49
	v_fma_f32 v93, v80, v48, -v6
	v_mul_f32_e32 v80, v80, v49
	v_mul_f32_e32 v6, v75, v51
	v_fmac_f32_e32 v80, v81, v48
	v_fma_f32 v81, v74, v50, -v6
	v_mul_f32_e32 v6, v79, v61
	v_fma_f32 v94, v78, v60, -v6
	v_mul_f32_e32 v95, v78, v61
	v_mul_f32_e32 v6, v69, v63
	v_fmac_f32_e32 v95, v79, v60
	;; [unrolled: 6-line block ×3, first 2 shown]
	v_fma_f32 v83, v0, v58, -v6
	v_mul_f32_e32 v98, v0, v59
	v_add_f32_e32 v0, v9, v18
	v_add_f32_e32 v0, v0, v90
	;; [unrolled: 1-line block ×3, first 2 shown]
	v_mul_f32_e32 v89, v15, v45
	v_add_f32_e32 v6, v0, v71
	v_add_f32_e32 v0, v90, v65
	v_fmac_f32_e32 v89, v16, v44
	v_fma_f32 v15, -0.5, v0, v9
	v_sub_f32_e32 v0, v89, v72
	v_mov_b32_e32 v17, v15
	v_fmac_f32_e32 v98, v1, v58
	v_fmac_f32_e32 v17, 0x3f737871, v0
	v_sub_f32_e32 v1, v91, v70
	v_sub_f32_e32 v7, v18, v90
	;; [unrolled: 1-line block ×3, first 2 shown]
	v_fmac_f32_e32 v15, 0xbf737871, v0
	v_fmac_f32_e32 v17, 0x3f167918, v1
	v_add_f32_e32 v7, v7, v16
	v_fmac_f32_e32 v15, 0xbf167918, v1
	v_fmac_f32_e32 v17, 0x3e9e377a, v7
	;; [unrolled: 1-line block ×3, first 2 shown]
	v_add_f32_e32 v7, v18, v71
	v_fma_f32 v9, -0.5, v7, v9
	v_mov_b32_e32 v64, v9
	v_fmac_f32_e32 v64, 0xbf737871, v1
	v_fmac_f32_e32 v9, 0x3f737871, v1
	;; [unrolled: 1-line block ×4, first 2 shown]
	v_add_f32_e32 v0, v10, v89
	v_sub_f32_e32 v7, v90, v18
	v_sub_f32_e32 v16, v65, v71
	v_add_f32_e32 v0, v0, v91
	v_add_f32_e32 v7, v7, v16
	;; [unrolled: 1-line block ×3, first 2 shown]
	v_fmac_f32_e32 v64, 0x3e9e377a, v7
	v_fmac_f32_e32 v9, 0x3e9e377a, v7
	v_add_f32_e32 v7, v0, v72
	v_add_f32_e32 v0, v91, v70
	v_fma_f32 v16, -0.5, v0, v10
	v_sub_f32_e32 v0, v18, v71
	v_mov_b32_e32 v18, v16
	v_mul_f32_e32 v92, v66, v55
	v_fmac_f32_e32 v18, 0xbf737871, v0
	v_sub_f32_e32 v1, v90, v65
	v_sub_f32_e32 v65, v89, v91
	;; [unrolled: 1-line block ×3, first 2 shown]
	v_fmac_f32_e32 v16, 0x3f737871, v0
	v_fmac_f32_e32 v18, 0xbf167918, v1
	v_add_f32_e32 v65, v65, v66
	v_fmac_f32_e32 v16, 0x3f167918, v1
	v_fmac_f32_e32 v18, 0x3e9e377a, v65
	;; [unrolled: 1-line block ×3, first 2 shown]
	v_add_f32_e32 v65, v89, v72
	v_fma_f32 v10, -0.5, v65, v10
	v_mov_b32_e32 v65, v10
	v_fmac_f32_e32 v65, 0x3f737871, v1
	v_fmac_f32_e32 v10, 0xbf737871, v1
	;; [unrolled: 1-line block ×4, first 2 shown]
	v_add_f32_e32 v0, v11, v73
	v_fmac_f32_e32 v92, v67, v54
	v_sub_f32_e32 v66, v91, v89
	v_sub_f32_e32 v67, v70, v72
	v_add_f32_e32 v0, v0, v77
	v_add_f32_e32 v66, v66, v67
	;; [unrolled: 1-line block ×3, first 2 shown]
	v_mul_f32_e32 v74, v74, v51
	v_fmac_f32_e32 v65, 0x3e9e377a, v66
	v_fmac_f32_e32 v10, 0x3e9e377a, v66
	v_add_f32_e32 v66, v0, v81
	v_add_f32_e32 v0, v77, v93
	v_fmac_f32_e32 v74, v75, v50
	v_mul_f32_e32 v96, v68, v63
	v_fma_f32 v68, -0.5, v0, v11
	v_sub_f32_e32 v0, v76, v74
	v_mov_b32_e32 v70, v68
	v_fmac_f32_e32 v96, v69, v62
	v_fmac_f32_e32 v70, 0x3f737871, v0
	v_sub_f32_e32 v1, v92, v80
	v_sub_f32_e32 v67, v73, v77
	;; [unrolled: 1-line block ×3, first 2 shown]
	v_fmac_f32_e32 v68, 0xbf737871, v0
	v_fmac_f32_e32 v70, 0x3f167918, v1
	v_add_f32_e32 v67, v67, v69
	v_fmac_f32_e32 v68, 0xbf167918, v1
	v_fmac_f32_e32 v70, 0x3e9e377a, v67
	;; [unrolled: 1-line block ×3, first 2 shown]
	v_add_f32_e32 v67, v73, v81
	v_fma_f32 v11, -0.5, v67, v11
	v_mov_b32_e32 v72, v11
	v_fmac_f32_e32 v72, 0xbf737871, v1
	v_fmac_f32_e32 v11, 0x3f737871, v1
	;; [unrolled: 1-line block ×4, first 2 shown]
	v_add_f32_e32 v0, v12, v76
	v_sub_f32_e32 v67, v77, v73
	v_sub_f32_e32 v69, v93, v81
	v_add_f32_e32 v0, v0, v92
	v_add_f32_e32 v67, v67, v69
	;; [unrolled: 1-line block ×3, first 2 shown]
	v_fmac_f32_e32 v72, 0x3e9e377a, v67
	v_fmac_f32_e32 v11, 0x3e9e377a, v67
	v_add_f32_e32 v67, v0, v74
	v_add_f32_e32 v0, v92, v80
	v_fma_f32 v69, -0.5, v0, v12
	v_sub_f32_e32 v0, v73, v81
	v_mov_b32_e32 v71, v69
	v_fmac_f32_e32 v71, 0xbf737871, v0
	v_sub_f32_e32 v1, v77, v93
	v_sub_f32_e32 v73, v76, v92
	;; [unrolled: 1-line block ×3, first 2 shown]
	v_fmac_f32_e32 v69, 0x3f737871, v0
	v_fmac_f32_e32 v71, 0xbf167918, v1
	v_add_f32_e32 v73, v73, v75
	v_fmac_f32_e32 v69, 0x3f167918, v1
	v_fmac_f32_e32 v71, 0x3e9e377a, v73
	;; [unrolled: 1-line block ×3, first 2 shown]
	v_add_f32_e32 v73, v76, v74
	v_fmac_f32_e32 v12, -0.5, v73
	v_mov_b32_e32 v73, v12
	v_fmac_f32_e32 v73, 0x3f737871, v1
	v_fmac_f32_e32 v12, 0xbf737871, v1
	;; [unrolled: 1-line block ×4, first 2 shown]
	v_add_f32_e32 v0, v13, v94
	v_sub_f32_e32 v75, v92, v76
	v_sub_f32_e32 v74, v80, v74
	v_add_f32_e32 v0, v0, v79
	v_add_f32_e32 v74, v75, v74
	;; [unrolled: 1-line block ×3, first 2 shown]
	v_fmac_f32_e32 v73, 0x3e9e377a, v74
	v_fmac_f32_e32 v12, 0x3e9e377a, v74
	v_add_f32_e32 v74, v0, v83
	v_add_f32_e32 v0, v79, v97
	v_fma_f32 v0, -0.5, v0, v13
	v_sub_f32_e32 v1, v95, v98
	v_mov_b32_e32 v76, v0
	v_fmac_f32_e32 v76, 0x3f737871, v1
	v_sub_f32_e32 v75, v96, v82
	v_sub_f32_e32 v77, v94, v79
	;; [unrolled: 1-line block ×3, first 2 shown]
	v_fmac_f32_e32 v0, 0xbf737871, v1
	v_fmac_f32_e32 v76, 0x3f167918, v75
	v_add_f32_e32 v77, v77, v78
	v_fmac_f32_e32 v0, 0xbf167918, v75
	v_fmac_f32_e32 v76, 0x3e9e377a, v77
	;; [unrolled: 1-line block ×3, first 2 shown]
	v_add_f32_e32 v77, v94, v83
	v_fma_f32 v13, -0.5, v77, v13
	v_mov_b32_e32 v78, v13
	v_fmac_f32_e32 v78, 0xbf737871, v75
	v_fmac_f32_e32 v13, 0x3f737871, v75
	;; [unrolled: 1-line block ×4, first 2 shown]
	v_add_f32_e32 v1, v14, v95
	v_add_f32_e32 v1, v1, v96
	v_add_f32_e32 v1, v1, v82
	v_sub_f32_e32 v77, v79, v94
	v_sub_f32_e32 v80, v97, v83
	v_add_f32_e32 v75, v1, v98
	v_add_f32_e32 v1, v96, v82
	;; [unrolled: 1-line block ×3, first 2 shown]
	v_fma_f32 v1, -0.5, v1, v14
	v_fmac_f32_e32 v78, 0x3e9e377a, v77
	v_fmac_f32_e32 v13, 0x3e9e377a, v77
	v_sub_f32_e32 v80, v94, v83
	v_mov_b32_e32 v77, v1
	v_fmac_f32_e32 v77, 0xbf737871, v80
	v_sub_f32_e32 v81, v79, v97
	v_sub_f32_e32 v79, v95, v96
	;; [unrolled: 1-line block ×3, first 2 shown]
	v_fmac_f32_e32 v1, 0x3f737871, v80
	v_fmac_f32_e32 v77, 0xbf167918, v81
	v_add_f32_e32 v79, v79, v83
	v_fmac_f32_e32 v1, 0x3f167918, v81
	v_fmac_f32_e32 v77, 0x3e9e377a, v79
	;; [unrolled: 1-line block ×3, first 2 shown]
	v_add_f32_e32 v79, v95, v98
	v_fmac_f32_e32 v14, -0.5, v79
	v_mov_b32_e32 v79, v14
	ds_write2_b64 v143, v[6:7], v[17:18] offset1:51
	ds_write2_b64 v143, v[64:65], v[9:10] offset0:102 offset1:153
	ds_write_b64 v143, v[15:16] offset:1632
	v_mul_u32_u24_e32 v6, 0xff, v85
	v_fmac_f32_e32 v79, 0x3f737871, v81
	v_sub_f32_e32 v83, v96, v95
	v_sub_f32_e32 v82, v82, v98
	v_fmac_f32_e32 v14, 0xbf737871, v81
	v_add_lshl_u32 v144, v6, v86, 3
	v_mad_legacy_u16 v6, v87, s2, v88
	v_fmac_f32_e32 v79, 0xbf167918, v80
	v_add_f32_e32 v82, v83, v82
	v_fmac_f32_e32 v14, 0x3f167918, v80
	v_lshlrev_b32_e32 v145, 3, v6
	v_fmac_f32_e32 v79, 0x3e9e377a, v82
	v_fmac_f32_e32 v14, 0x3e9e377a, v82
	ds_write2_b64 v144, v[66:67], v[70:71] offset1:51
	ds_write2_b64 v144, v[72:73], v[11:12] offset0:102 offset1:153
	ds_write_b64 v144, v[68:69] offset:1632
	ds_write2_b64 v145, v[74:75], v[76:77] offset1:51
	ds_write2_b64 v145, v[78:79], v[13:14] offset0:102 offset1:153
	ds_write_b64 v145, v[0:1] offset:1632
	s_waitcnt lgkmcnt(0)
	s_barrier
	ds_read2_b64 v[88:91], v137 offset1:119
	ds_read2_b64 v[92:95], v132 offset0:127 offset1:246
	ds_read2_b64 v[96:99], v131 offset0:126 offset1:245
	;; [unrolled: 1-line block ×6, first 2 shown]
	v_cmp_gt_u16_e64 s[2:3], 17, v136
	s_and_saveexec_b64 s[14:15], s[2:3]
	s_cbranch_execz .LBB0_9
; %bb.8:
	v_add_u32_e32 v0, 0x770, v137
	v_add_u32_e32 v4, 0x1760, v137
	;; [unrolled: 1-line block ×3, first 2 shown]
	ds_read2_b64 v[0:3], v0 offset1:255
	ds_read2_b64 v[4:7], v4 offset1:255
	;; [unrolled: 1-line block ×3, first 2 shown]
	ds_read_b64 v[120:121], v137 offset:14144
.LBB0_9:
	s_or_b64 exec, exec, s[14:15]
	v_subrev_u32_e32 v9, 17, v136
	v_mad_u64_u32 v[16:17], s[14:15], v136, 48, s[12:13]
	v_cndmask_b32_e64 v8, v9, v8, s[2:3]
	v_mul_hi_i32_i24_e32 v9, 48, v8
	v_mul_i32_i24_e32 v8, 48, v8
	v_mov_b32_e32 v10, s13
	v_add_co_u32_e32 v18, vcc, s12, v8
	v_addc_co_u32_e32 v19, vcc, v10, v9, vcc
	s_movk_i32 s13, 0x1000
	v_add_co_u32_e32 v72, vcc, s13, v16
	s_movk_i32 s12, 0x1dc0
	v_addc_co_u32_e32 v73, vcc, 0, v17, vcc
	global_load_dwordx4 v[68:71], v[16:17], off offset:1904
	global_load_dwordx4 v[64:67], v[16:17], off offset:1920
	global_load_dwordx4 v[80:83], v[16:17], off offset:1936
	v_add_co_u32_e32 v16, vcc, s12, v16
	global_load_dwordx4 v[8:11], v[18:19], off offset:1904
	global_load_dwordx4 v[12:15], v[18:19], off offset:1920
	;; [unrolled: 1-line block ×3, first 2 shown]
	v_addc_co_u32_e32 v17, vcc, 0, v17, vcc
	global_load_dwordx4 v[76:79], v[16:17], off offset:16
	global_load_dwordx4 v[72:75], v[16:17], off offset:32
	s_nop 0
	global_load_dwordx4 v[16:19], v[18:19], off offset:1936
	s_mov_b32 s12, 0x3f5ff5aa
	s_mov_b32 s14, 0xbf3bfb3b
	;; [unrolled: 1-line block ×4, first 2 shown]
	s_waitcnt vmcnt(8) lgkmcnt(4)
	v_mul_f32_e32 v126, v96, v71
	s_waitcnt vmcnt(7) lgkmcnt(2)
	v_mul_f32_e32 v146, v105, v67
	v_mul_f32_e32 v123, v92, v69
	;; [unrolled: 1-line block ×5, first 2 shown]
	s_waitcnt vmcnt(6) lgkmcnt(1)
	v_mul_f32_e32 v148, v109, v81
	s_waitcnt vmcnt(5)
	v_mul_f32_e32 v153, v2, v9
	v_mul_f32_e32 v154, v5, v11
	v_fmac_f32_e32 v126, v97, v70
	v_fma_f32 v97, v104, v66, -v146
	s_waitcnt vmcnt(3)
	v_mul_f32_e32 v104, v95, v85
	v_mul_f32_e32 v122, v93, v69
	;; [unrolled: 1-line block ×4, first 2 shown]
	s_waitcnt lgkmcnt(0)
	v_mul_f32_e32 v150, v113, v83
	v_mul_f32_e32 v152, v3, v9
	;; [unrolled: 1-line block ×3, first 2 shown]
	v_fmac_f32_e32 v123, v93, v68
	v_fma_f32 v93, v96, v70, -v125
	v_fma_f32 v96, v100, v64, -v133
	;; [unrolled: 1-line block ×3, first 2 shown]
	v_mul_f32_e32 v108, v94, v85
	s_waitcnt vmcnt(2)
	v_mul_f32_e32 v125, v106, v79
	s_waitcnt vmcnt(1)
	v_mul_f32_e32 v133, v111, v73
	v_mul_f32_e32 v148, v115, v75
	v_fmac_f32_e32 v153, v3, v8
	v_fma_f32 v3, v4, v10, -v154
	v_fma_f32 v4, v94, v84, -v104
	s_waitcnt vmcnt(0)
	v_mul_f32_e32 v94, v119, v17
	v_mul_f32_e32 v151, v112, v83
	v_fma_f32 v92, v92, v68, -v122
	v_fmac_f32_e32 v134, v101, v64
	v_fmac_f32_e32 v149, v109, v80
	v_fma_f32 v101, v112, v82, -v150
	v_mul_f32_e32 v109, v98, v87
	v_mul_f32_e32 v122, v107, v79
	;; [unrolled: 1-line block ×3, first 2 shown]
	v_fmac_f32_e32 v125, v107, v78
	v_fma_f32 v107, v110, v72, -v133
	v_fma_f32 v110, v114, v74, -v148
	;; [unrolled: 1-line block ×3, first 2 shown]
	v_mul_f32_e32 v94, v121, v19
	v_fmac_f32_e32 v147, v105, v66
	v_fmac_f32_e32 v151, v113, v82
	v_mul_f32_e32 v105, v99, v87
	v_mul_f32_e32 v112, v103, v77
	v_fmac_f32_e32 v109, v99, v86
	v_fma_f32 v154, v120, v18, -v94
	v_add_f32_e32 v94, v92, v101
	v_add_f32_e32 v99, v93, v100
	v_mul_f32_e32 v156, v7, v13
	v_mul_f32_e32 v113, v102, v77
	;; [unrolled: 1-line block ×3, first 2 shown]
	v_fmac_f32_e32 v108, v95, v84
	v_fma_f32 v112, v102, v76, -v112
	v_add_f32_e32 v95, v123, v151
	v_sub_f32_e32 v92, v92, v101
	v_add_f32_e32 v101, v126, v149
	v_sub_f32_e32 v93, v93, v100
	;; [unrolled: 2-line block ×3, first 2 shown]
	v_add_f32_e32 v104, v99, v94
	v_fma_f32 v2, v2, v8, -v152
	v_fmac_f32_e32 v155, v5, v10
	v_fma_f32 v5, v98, v86, -v105
	v_fmac_f32_e32 v113, v103, v76
	;; [unrolled: 2-line block ×3, first 2 shown]
	v_fmac_f32_e32 v150, v115, v74
	v_fma_f32 v122, v6, v12, -v156
	v_mul_f32_e32 v6, v6, v13
	v_mul_f32_e32 v133, v116, v15
	;; [unrolled: 1-line block ×3, first 2 shown]
	v_sub_f32_e32 v100, v126, v149
	v_add_f32_e32 v103, v134, v147
	v_sub_f32_e32 v97, v147, v134
	v_add_f32_e32 v105, v101, v95
	v_sub_f32_e32 v111, v99, v94
	v_sub_f32_e32 v94, v94, v102
	;; [unrolled: 1-line block ×3, first 2 shown]
	v_add_f32_e32 v115, v96, v93
	v_add_f32_e32 v102, v102, v104
	v_fmac_f32_e32 v6, v7, v12
	v_mul_f32_e32 v7, v117, v15
	v_fmac_f32_e32 v133, v117, v14
	v_fmac_f32_e32 v152, v119, v16
	v_sub_f32_e32 v114, v101, v95
	v_sub_f32_e32 v95, v95, v103
	;; [unrolled: 1-line block ×7, first 2 shown]
	v_add_f32_e32 v103, v103, v105
	v_add_f32_e32 v104, v115, v92
	;; [unrolled: 1-line block ×3, first 2 shown]
	v_sub_f32_e32 v98, v123, v151
	v_add_f32_e32 v93, v89, v103
	v_mul_f32_e32 v115, 0xbf08b237, v118
	v_mov_b32_e32 v118, v92
	v_fma_f32 v7, v116, v14, -v7
	v_add_f32_e32 v116, v97, v100
	v_sub_f32_e32 v97, v98, v97
	v_sub_f32_e32 v100, v100, v98
	v_mul_f32_e32 v88, 0x3f4a47b2, v94
	v_fmac_f32_e32 v118, 0xbf955555, v102
	v_mov_b32_e32 v102, v93
	v_add_f32_e32 v98, v116, v98
	v_mul_f32_e32 v89, 0x3f4a47b2, v95
	v_mul_f32_e32 v94, 0x3d64c772, v99
	;; [unrolled: 1-line block ×6, first 2 shown]
	v_fmac_f32_e32 v102, 0xbf955555, v103
	v_fma_f32 v103, v111, s14, -v88
	v_fmac_f32_e32 v88, 0x3d64c772, v99
	v_fma_f32 v100, v100, s12, -v115
	;; [unrolled: 2-line block ×3, first 2 shown]
	v_fma_f32 v95, v114, s13, -v95
	v_fma_f32 v99, v114, s14, -v89
	v_fmac_f32_e32 v89, 0x3d64c772, v101
	v_fma_f32 v101, v119, s12, -v105
	v_fmac_f32_e32 v105, 0x3eae86e6, v96
	v_fma_f32 v111, v96, s15, -v116
	v_fma_f32 v114, v97, s15, -v117
	v_add_f32_e32 v88, v88, v118
	v_fmac_f32_e32 v115, 0x3ee1c552, v98
	v_add_f32_e32 v89, v89, v102
	v_add_f32_e32 v116, v94, v118
	v_add_f32_e32 v103, v103, v118
	v_add_f32_e32 v118, v99, v102
	v_fmac_f32_e32 v105, 0x3ee1c552, v104
	v_fmac_f32_e32 v101, 0x3ee1c552, v104
	;; [unrolled: 1-line block ×4, first 2 shown]
	v_add_f32_e32 v94, v115, v88
	v_sub_f32_e32 v104, v88, v115
	v_add_f32_e32 v88, v4, v110
	v_sub_f32_e32 v4, v4, v110
	v_add_f32_e32 v110, v5, v107
	v_add_f32_e32 v117, v95, v102
	v_fmac_f32_e32 v100, 0x3ee1c552, v98
	v_sub_f32_e32 v95, v89, v105
	v_add_f32_e32 v96, v114, v103
	v_sub_f32_e32 v97, v118, v111
	v_sub_f32_e32 v102, v103, v114
	v_add_f32_e32 v103, v111, v118
	v_add_f32_e32 v105, v105, v89
	;; [unrolled: 1-line block ×4, first 2 shown]
	v_sub_f32_e32 v5, v5, v107
	v_sub_f32_e32 v107, v109, v146
	v_add_f32_e32 v109, v112, v106
	v_add_f32_e32 v114, v113, v125
	v_sub_f32_e32 v106, v106, v112
	v_sub_f32_e32 v112, v125, v113
	v_add_f32_e32 v113, v110, v88
	v_mul_f32_e32 v120, v120, v19
	v_sub_f32_e32 v98, v116, v100
	v_add_f32_e32 v100, v100, v116
	v_add_f32_e32 v115, v111, v89
	v_sub_f32_e32 v116, v110, v88
	v_sub_f32_e32 v88, v88, v109
	v_sub_f32_e32 v110, v109, v110
	v_add_f32_e32 v109, v109, v113
	v_fmac_f32_e32 v120, v121, v18
	v_sub_f32_e32 v108, v108, v150
	v_add_f32_e32 v118, v106, v5
	v_add_f32_e32 v119, v112, v107
	v_sub_f32_e32 v121, v106, v5
	v_sub_f32_e32 v125, v4, v106
	v_add_f32_e32 v113, v114, v115
	v_add_f32_e32 v106, v90, v109
	;; [unrolled: 1-line block ×3, first 2 shown]
	v_sub_f32_e32 v101, v117, v101
	v_sub_f32_e32 v117, v111, v89
	;; [unrolled: 1-line block ×6, first 2 shown]
	v_add_f32_e32 v108, v119, v108
	v_add_f32_e32 v107, v91, v113
	v_mul_f32_e32 v119, 0xbf08b237, v121
	v_mov_b32_e32 v121, v106
	v_sub_f32_e32 v111, v114, v111
	v_sub_f32_e32 v5, v5, v4
	v_mul_f32_e32 v88, 0x3f4a47b2, v88
	v_mul_f32_e32 v89, 0x3f4a47b2, v89
	v_fmac_f32_e32 v121, 0xbf955555, v109
	v_mov_b32_e32 v109, v107
	v_add_f32_e32 v4, v118, v4
	v_mul_f32_e32 v90, 0x3d64c772, v110
	v_mul_f32_e32 v91, 0x3d64c772, v111
	;; [unrolled: 1-line block ×4, first 2 shown]
	v_fmac_f32_e32 v109, 0xbf955555, v113
	v_fma_f32 v113, v116, s14, -v88
	v_fmac_f32_e32 v88, 0x3d64c772, v110
	v_fma_f32 v110, v117, s14, -v89
	;; [unrolled: 2-line block ×3, first 2 shown]
	v_fmac_f32_e32 v119, 0x3eae86e6, v125
	v_mul_f32_e32 v115, 0x3f5ff5aa, v126
	v_fma_f32 v90, v116, s13, -v90
	v_fma_f32 v91, v117, s13, -v91
	;; [unrolled: 1-line block ×3, first 2 shown]
	v_fmac_f32_e32 v118, 0x3eae86e6, v112
	v_fma_f32 v117, v125, s15, -v114
	v_add_f32_e32 v89, v89, v109
	v_fmac_f32_e32 v119, 0x3ee1c552, v4
	v_fma_f32 v123, v112, s15, -v115
	v_add_f32_e32 v88, v88, v121
	v_add_f32_e32 v90, v90, v121
	;; [unrolled: 1-line block ×4, first 2 shown]
	v_fmac_f32_e32 v118, 0x3ee1c552, v108
	v_fmac_f32_e32 v5, 0x3ee1c552, v4
	;; [unrolled: 1-line block ×4, first 2 shown]
	v_sub_f32_e32 v109, v89, v119
	v_add_f32_e32 v119, v119, v89
	v_add_f32_e32 v4, v2, v154
	;; [unrolled: 1-line block ×4, first 2 shown]
	v_fmac_f32_e32 v123, 0x3ee1c552, v108
	v_add_f32_e32 v108, v118, v88
	v_sub_f32_e32 v112, v90, v116
	v_add_f32_e32 v113, v5, v91
	v_add_f32_e32 v114, v116, v90
	v_sub_f32_e32 v115, v91, v5
	v_sub_f32_e32 v118, v88, v118
	v_add_f32_e32 v5, v153, v120
	v_sub_f32_e32 v88, v153, v120
	v_add_f32_e32 v90, v155, v152
	v_add_f32_e32 v120, v122, v7
	v_sub_f32_e32 v7, v7, v122
	v_add_f32_e32 v122, v89, v4
	;; [unrolled: 3-line block ×3, first 2 shown]
	v_add_f32_e32 v123, v90, v5
	v_add_f32_e32 v122, v120, v122
	v_sub_f32_e32 v111, v125, v117
	v_add_f32_e32 v117, v117, v125
	v_sub_f32_e32 v2, v2, v154
	v_sub_f32_e32 v3, v3, v148
	;; [unrolled: 1-line block ×7, first 2 shown]
	v_add_f32_e32 v123, v121, v123
	v_add_f32_e32 v120, v0, v122
	v_sub_f32_e32 v126, v90, v5
	v_sub_f32_e32 v5, v5, v121
	;; [unrolled: 1-line block ×3, first 2 shown]
	v_add_f32_e32 v133, v7, v3
	v_add_f32_e32 v134, v6, v91
	v_sub_f32_e32 v146, v7, v3
	v_sub_f32_e32 v147, v6, v91
	v_sub_f32_e32 v3, v3, v2
	v_sub_f32_e32 v91, v91, v88
	v_add_f32_e32 v121, v1, v123
	v_mov_b32_e32 v148, v120
	v_sub_f32_e32 v7, v2, v7
	v_sub_f32_e32 v6, v88, v6
	v_add_f32_e32 v2, v133, v2
	v_add_f32_e32 v88, v134, v88
	v_mul_f32_e32 v0, 0x3f4a47b2, v4
	v_mul_f32_e32 v1, 0x3f4a47b2, v5
	;; [unrolled: 1-line block ×8, first 2 shown]
	v_fmac_f32_e32 v148, 0xbf955555, v122
	v_mov_b32_e32 v122, v121
	v_fmac_f32_e32 v122, 0xbf955555, v123
	v_fma_f32 v4, v125, s13, -v4
	v_fma_f32 v5, v126, s13, -v5
	;; [unrolled: 1-line block ×3, first 2 shown]
	v_fmac_f32_e32 v0, 0x3d64c772, v89
	v_fma_f32 v89, v126, s14, -v1
	v_fmac_f32_e32 v1, 0x3d64c772, v90
	v_fma_f32 v90, v3, s12, -v133
	;; [unrolled: 2-line block ×4, first 2 shown]
	v_fma_f32 v6, v6, s15, -v147
	v_add_f32_e32 v0, v0, v148
	v_add_f32_e32 v1, v1, v122
	;; [unrolled: 1-line block ×6, first 2 shown]
	v_fmac_f32_e32 v133, 0x3ee1c552, v2
	v_fmac_f32_e32 v134, 0x3ee1c552, v88
	;; [unrolled: 1-line block ×6, first 2 shown]
	v_add_f32_e32 v122, v134, v0
	v_sub_f32_e32 v123, v1, v133
	v_add_f32_e32 v88, v6, v125
	v_sub_f32_e32 v89, v126, v7
	v_sub_f32_e32 v2, v4, v91
	v_add_f32_e32 v3, v90, v5
	v_add_f32_e32 v4, v91, v4
	v_sub_f32_e32 v5, v5, v90
	v_sub_f32_e32 v6, v125, v6
	v_add_f32_e32 v7, v7, v126
	v_sub_f32_e32 v125, v0, v134
	v_add_f32_e32 v126, v133, v1
	ds_write2_b64 v137, v[92:93], v[106:107] offset1:119
	ds_write2_b64 v132, v[94:95], v[108:109] offset0:127 offset1:246
	ds_write2_b64 v131, v[96:97], v[110:111] offset0:126 offset1:245
	;; [unrolled: 1-line block ×6, first 2 shown]
	s_and_saveexec_b64 s[12:13], s[2:3]
	s_cbranch_execz .LBB0_11
; %bb.10:
	v_add_u32_e32 v0, 0x770, v137
	ds_write2_b64 v0, v[120:121], v[122:123] offset1:255
	v_add_u32_e32 v0, 0x1760, v137
	ds_write2_b64 v0, v[88:89], v[2:3] offset1:255
	;; [unrolled: 2-line block ×3, first 2 shown]
	ds_write_b64 v137, v[125:126] offset:14144
.LBB0_11:
	s_or_b64 exec, exec, s[12:13]
	s_waitcnt lgkmcnt(0)
	s_barrier
	s_and_saveexec_b64 s[12:13], s[0:1]
	s_cbranch_execz .LBB0_13
; %bb.12:
	v_mov_b32_e32 v0, s9
	v_add_co_u32_e32 v129, vcc, s8, v135
	v_addc_co_u32_e32 v130, vcc, 0, v0, vcc
	v_add_co_u32_e32 v0, vcc, 0x37c8, v129
	v_addc_co_u32_e32 v1, vcc, 0, v130, vcc
	;; [unrolled: 2-line block ×3, first 2 shown]
	global_load_dwordx2 v[90:91], v[90:91], off offset:1992
	s_nop 0
	global_load_dwordx2 v[158:159], v[0:1], off offset:840
	global_load_dwordx2 v[160:161], v[0:1], off offset:1680
	;; [unrolled: 1-line block ×3, first 2 shown]
	s_nop 0
	global_load_dwordx2 v[0:1], v[0:1], off offset:3360
	s_movk_i32 s14, 0x4000
	v_add_co_u32_e32 v127, vcc, s14, v129
	v_addc_co_u32_e32 v128, vcc, 0, v130, vcc
	global_load_dwordx2 v[164:165], v[127:128], off offset:2096
	global_load_dwordx2 v[166:167], v[127:128], off offset:2936
	;; [unrolled: 1-line block ×3, first 2 shown]
	s_movk_i32 s14, 0x5000
	v_add_co_u32_e32 v127, vcc, s14, v129
	v_addc_co_u32_e32 v128, vcc, 0, v130, vcc
	global_load_dwordx2 v[170:171], v[127:128], off offset:520
	global_load_dwordx2 v[172:173], v[127:128], off offset:1360
	;; [unrolled: 1-line block ×5, first 2 shown]
	s_movk_i32 s14, 0x6000
	v_add_co_u32_e32 v127, vcc, s14, v129
	v_addc_co_u32_e32 v128, vcc, 0, v130, vcc
	global_load_dwordx2 v[180:181], v[127:128], off offset:624
	global_load_dwordx2 v[182:183], v[127:128], off offset:1464
	ds_read_b64 v[129:130], v137
	global_load_dwordx2 v[184:185], v[127:128], off offset:2304
	global_load_dwordx2 v[186:187], v[127:128], off offset:3144
	v_add_u32_e32 v188, 0x800, v135
	v_add_u32_e32 v189, 0x1000, v135
	;; [unrolled: 1-line block ×4, first 2 shown]
	s_waitcnt vmcnt(16) lgkmcnt(0)
	v_mul_f32_e32 v127, v130, v91
	v_mul_f32_e32 v128, v129, v91
	v_fma_f32 v127, v129, v90, -v127
	v_fmac_f32_e32 v128, v130, v90
	ds_write_b64 v137, v[127:128]
	ds_read2_b64 v[127:130], v135 offset0:105 offset1:210
	ds_read2_b64 v[131:134], v188 offset0:59 offset1:164
	;; [unrolled: 1-line block ×5, first 2 shown]
	s_waitcnt vmcnt(15) lgkmcnt(4)
	v_mul_f32_e32 v90, v128, v159
	v_mul_f32_e32 v91, v127, v159
	s_waitcnt vmcnt(14)
	v_mul_f32_e32 v192, v130, v161
	v_mul_f32_e32 v159, v129, v161
	s_waitcnt vmcnt(13) lgkmcnt(3)
	v_mul_f32_e32 v193, v132, v163
	v_mul_f32_e32 v161, v131, v163
	s_waitcnt vmcnt(12)
	v_mul_f32_e32 v194, v134, v1
	v_mul_f32_e32 v163, v133, v1
	;; [unrolled: 6-line block ×3, first 2 shown]
	s_waitcnt vmcnt(9) lgkmcnt(1)
	v_mul_f32_e32 v197, v151, v169
	v_mul_f32_e32 v167, v150, v169
	s_waitcnt vmcnt(8)
	v_mul_f32_e32 v169, v153, v171
	v_fma_f32 v90, v127, v158, -v90
	v_fmac_f32_e32 v91, v128, v158
	v_fma_f32 v158, v129, v160, -v192
	v_fmac_f32_e32 v159, v130, v160
	v_mul_f32_e32 v128, v152, v171
	v_fma_f32 v160, v131, v162, -v193
	v_fmac_f32_e32 v161, v132, v162
	v_fma_f32 v162, v133, v0, -v194
	v_fmac_f32_e32 v163, v134, v0
	;; [unrolled: 2-line block ×5, first 2 shown]
	v_fma_f32 v127, v152, v170, -v169
	ds_write2_b64 v135, v[90:91], v[158:159] offset0:105 offset1:210
	ds_write2_b64 v188, v[160:161], v[162:163] offset0:59 offset1:164
	;; [unrolled: 1-line block ×3, first 2 shown]
	v_fmac_f32_e32 v128, v153, v170
	v_add_u32_e32 v146, 0x2000, v135
	ds_write2_b64 v190, v[166:167], v[127:128] offset0:95 offset1:200
	ds_read2_b64 v[127:130], v146 offset0:131 offset1:236
	v_add_u32_e32 v147, 0x2800, v135
	ds_read2_b64 v[131:134], v147 offset0:85 offset1:190
	s_waitcnt vmcnt(7) lgkmcnt(6)
	v_mul_f32_e32 v0, v155, v173
	v_mul_f32_e32 v1, v154, v173
	s_waitcnt vmcnt(6)
	v_mul_f32_e32 v90, v157, v175
	v_mul_f32_e32 v91, v156, v175
	v_fma_f32 v0, v154, v172, -v0
	v_fmac_f32_e32 v1, v155, v172
	v_fma_f32 v90, v156, v174, -v90
	v_fmac_f32_e32 v91, v157, v174
	ds_write2_b64 v191, v[0:1], v[90:91] offset0:49 offset1:154
	s_waitcnt vmcnt(5) lgkmcnt(2)
	v_mul_f32_e32 v0, v128, v177
	v_mul_f32_e32 v1, v127, v177
	s_waitcnt vmcnt(4)
	v_mul_f32_e32 v90, v130, v179
	v_mul_f32_e32 v91, v129, v179
	v_fma_f32 v0, v127, v176, -v0
	v_fmac_f32_e32 v1, v128, v176
	v_fma_f32 v90, v129, v178, -v90
	v_fmac_f32_e32 v91, v130, v178
	ds_write2_b64 v146, v[0:1], v[90:91] offset0:131 offset1:236
	s_waitcnt vmcnt(3) lgkmcnt(2)
	v_mul_f32_e32 v0, v132, v181
	v_fma_f32 v0, v131, v180, -v0
	v_mul_f32_e32 v1, v131, v181
	v_add_u32_e32 v131, 0x3000, v135
	ds_read2_b64 v[127:130], v131 offset0:39 offset1:144
	s_waitcnt vmcnt(2)
	v_mul_f32_e32 v90, v134, v183
	v_mul_f32_e32 v91, v133, v183
	v_fmac_f32_e32 v1, v132, v180
	v_fma_f32 v90, v133, v182, -v90
	v_fmac_f32_e32 v91, v134, v182
	ds_write2_b64 v147, v[0:1], v[90:91] offset0:85 offset1:190
	s_waitcnt vmcnt(1) lgkmcnt(1)
	v_mul_f32_e32 v0, v128, v185
	v_mul_f32_e32 v1, v127, v185
	s_waitcnt vmcnt(0)
	v_mul_f32_e32 v90, v130, v187
	v_mul_f32_e32 v91, v129, v187
	v_fma_f32 v0, v127, v184, -v0
	v_fmac_f32_e32 v1, v128, v184
	v_fma_f32 v90, v129, v186, -v90
	v_fmac_f32_e32 v91, v130, v186
	ds_write2_b64 v131, v[0:1], v[90:91] offset0:39 offset1:144
.LBB0_13:
	s_or_b64 exec, exec, s[12:13]
	s_waitcnt lgkmcnt(0)
	s_barrier
	s_and_saveexec_b64 s[12:13], s[0:1]
	s_cbranch_execz .LBB0_15
; %bb.14:
	v_add_u32_e32 v0, 0x400, v137
	ds_read2_b64 v[96:99], v0 offset0:82 offset1:187
	v_add_u32_e32 v0, 0xc00, v137
	ds_read2_b64 v[100:103], v0 offset0:36 offset1:141
	;; [unrolled: 2-line block ×6, first 2 shown]
	v_add_u32_e32 v0, 0x2c00, v137
	ds_read2_b64 v[92:95], v137 offset1:105
	ds_read2_b64 v[120:123], v0 offset0:62 offset1:167
	ds_read_b64 v[88:89], v137 offset:13440
.LBB0_15:
	s_or_b64 exec, exec, s[12:13]
	s_waitcnt lgkmcnt(0)
	v_sub_f32_e32 v186, v95, v89
	v_add_f32_e32 v146, v88, v94
	v_add_f32_e32 v176, v89, v95
	s_mov_b32 s14, 0x3f6eb680
	v_mul_f32_e32 v124, 0xbeb8f4ab, v186
	v_sub_f32_e32 v192, v97, v123
	v_mul_f32_e32 v163, 0x3f6eb680, v176
	v_fma_f32 v0, v146, s14, -v124
	s_mov_b32 s15, 0x3f3d2fb0
	v_add_f32_e32 v147, v122, v96
	v_add_f32_e32 v181, v123, v97
	v_mul_f32_e32 v128, 0xbf2c7751, v192
	v_sub_f32_e32 v148, v94, v88
	v_add_f32_e32 v0, v92, v0
	v_mov_b32_e32 v1, v163
	v_mul_f32_e32 v165, 0x3f3d2fb0, v181
	v_fma_f32 v127, v147, s15, -v128
	v_fmac_f32_e32 v1, 0xbeb8f4ab, v148
	v_mul_f32_e32 v167, 0xbf2c7751, v186
	v_sub_f32_e32 v150, v96, v122
	v_add_f32_e32 v0, v127, v0
	v_mov_b32_e32 v127, v165
	v_add_f32_e32 v1, v93, v1
	v_mul_f32_e32 v170, 0x3f3d2fb0, v176
	v_fma_f32 v90, v146, s15, -v167
	v_fmac_f32_e32 v127, 0xbf2c7751, v150
	s_mov_b32 s16, 0x3dbcf732
	v_mul_f32_e32 v171, 0xbf7ee86f, v192
	v_add_f32_e32 v90, v92, v90
	v_mov_b32_e32 v91, v170
	v_add_f32_e32 v1, v127, v1
	v_mul_f32_e32 v174, 0x3dbcf732, v181
	v_fma_f32 v127, v147, s16, -v171
	v_fmac_f32_e32 v91, 0xbf2c7751, v148
	v_add_f32_e32 v90, v127, v90
	v_mov_b32_e32 v127, v174
	v_sub_f32_e32 v197, v99, v121
	v_add_f32_e32 v91, v93, v91
	v_fmac_f32_e32 v127, 0xbf7ee86f, v150
	v_add_f32_e32 v149, v120, v98
	v_add_f32_e32 v187, v121, v99
	s_mov_b32 s17, 0x3ee437d1
	v_mul_f32_e32 v166, 0xbf65296c, v197
	v_add_f32_e32 v91, v127, v91
	v_mul_f32_e32 v168, 0x3ee437d1, v187
	v_fma_f32 v127, v149, s17, -v166
	v_sub_f32_e32 v152, v98, v120
	v_add_f32_e32 v0, v127, v0
	v_mov_b32_e32 v127, v168
	v_fmac_f32_e32 v127, 0xbf65296c, v152
	s_mov_b32 s18, 0xbf1a4643
	v_mul_f32_e32 v175, 0xbf4c4adb, v197
	v_add_f32_e32 v1, v127, v1
	v_mul_f32_e32 v179, 0xbf1a4643, v187
	v_fma_f32 v127, v149, s18, -v175
	v_add_f32_e32 v90, v127, v90
	v_mov_b32_e32 v127, v179
	v_sub_f32_e32 v206, v101, v119
	v_fmac_f32_e32 v127, 0xbf4c4adb, v152
	v_add_f32_e32 v151, v118, v100
	v_add_f32_e32 v194, v119, v101
	v_mul_f32_e32 v169, 0xbf7ee86f, v206
	v_add_f32_e32 v91, v127, v91
	v_mul_f32_e32 v172, 0x3dbcf732, v194
	v_fma_f32 v127, v151, s16, -v169
	v_sub_f32_e32 v154, v100, v118
	v_add_f32_e32 v0, v127, v0
	v_mov_b32_e32 v127, v172
	v_fmac_f32_e32 v127, 0xbf7ee86f, v154
	s_mov_b32 s19, 0xbf7ba420
	v_mul_f32_e32 v180, 0xbe3c28d5, v206
	v_add_f32_e32 v1, v127, v1
	v_mul_f32_e32 v184, 0xbf7ba420, v194
	v_fma_f32 v127, v151, s19, -v180
	v_add_f32_e32 v90, v127, v90
	v_mov_b32_e32 v127, v184
	v_sub_f32_e32 v216, v103, v117
	v_fmac_f32_e32 v127, 0xbe3c28d5, v154
	v_add_f32_e32 v153, v116, v102
	v_add_f32_e32 v198, v117, v103
	s_mov_b32 s20, 0xbe8c1d8e
	v_mul_f32_e32 v173, 0xbf763a35, v216
	v_add_f32_e32 v91, v127, v91
	v_mul_f32_e32 v177, 0xbe8c1d8e, v198
	v_fma_f32 v127, v153, s20, -v173
	v_sub_f32_e32 v156, v102, v116
	v_add_f32_e32 v0, v127, v0
	v_mov_b32_e32 v127, v177
	v_fmac_f32_e32 v127, 0xbf763a35, v156
	s_mov_b32 s21, 0xbf59a7d5
	v_mul_f32_e32 v185, 0x3f06c442, v216
	v_add_f32_e32 v1, v127, v1
	v_mul_f32_e32 v191, 0xbf59a7d5, v198
	v_fma_f32 v127, v153, s21, -v185
	v_add_f32_e32 v90, v127, v90
	v_mov_b32_e32 v127, v191
	v_sub_f32_e32 v226, v105, v115
	v_fmac_f32_e32 v127, 0x3f06c442, v156
	v_add_f32_e32 v155, v114, v104
	v_add_f32_e32 v210, v115, v105
	v_mul_f32_e32 v178, 0xbf4c4adb, v226
	v_add_f32_e32 v91, v127, v91
	v_mul_f32_e32 v183, 0xbf1a4643, v210
	v_fma_f32 v127, v155, s18, -v178
	v_sub_f32_e32 v158, v104, v114
	v_add_f32_e32 v0, v127, v0
	v_mov_b32_e32 v127, v183
	v_fmac_f32_e32 v127, 0xbf4c4adb, v158
	v_mul_f32_e32 v190, 0x3f763a35, v226
	v_add_f32_e32 v1, v127, v1
	v_mul_f32_e32 v196, 0xbe8c1d8e, v210
	v_fma_f32 v127, v155, s20, -v190
	v_add_f32_e32 v90, v127, v90
	v_mov_b32_e32 v127, v196
	v_sub_f32_e32 v231, v107, v113
	v_fmac_f32_e32 v127, 0x3f763a35, v158
	v_add_f32_e32 v157, v112, v106
	v_add_f32_e32 v221, v113, v107
	v_mul_f32_e32 v182, 0xbf06c442, v231
	v_add_f32_e32 v91, v127, v91
	v_mul_f32_e32 v189, 0xbf59a7d5, v221
	v_fma_f32 v127, v157, s21, -v182
	v_sub_f32_e32 v160, v106, v112
	v_add_f32_e32 v0, v127, v0
	v_mov_b32_e32 v127, v189
	v_fmac_f32_e32 v127, 0xbf06c442, v160
	;; [unrolled: 18-line block ×3, first 2 shown]
	v_mul_f32_e32 v201, 0x3eb8f4ab, v232
	v_add_f32_e32 v1, v127, v1
	v_mul_f32_e32 v213, 0x3f6eb680, v230
	v_fma_f32 v127, v159, s14, -v201
	v_add_f32_e32 v90, v127, v90
	v_mov_b32_e32 v127, v213
	v_fmac_f32_e32 v127, 0x3eb8f4ab, v161
	v_add_f32_e32 v91, v127, v91
	s_barrier
	s_and_saveexec_b64 s[12:13], s[0:1]
	s_cbranch_execz .LBB0_17
; %bb.16:
	v_mul_f32_e32 v127, 0xbf65296c, v148
	v_mul_f32_e32 v129, 0xbf4c4adb, v150
	v_fmac_f32_e32 v127, 0x3ee437d1, v176
	buffer_store_dword v128, off, s[24:27], 0 offset:40 ; 4-byte Folded Spill
	v_mov_b32_e32 v128, v129
	v_add_f32_e32 v127, v93, v127
	v_fmac_f32_e32 v128, 0xbf1a4643, v181
	v_add_f32_e32 v127, v128, v127
	v_mul_f32_e32 v128, 0x3e3c28d5, v152
	v_fmac_f32_e32 v128, 0xbf7ba420, v187
	v_add_f32_e32 v127, v128, v127
	v_mul_f32_e32 v128, 0x3f763a35, v154
	v_fmac_f32_e32 v128, 0xbe8c1d8e, v194
	v_add_f32_e32 v127, v128, v127
	v_mul_f32_e32 v128, 0x3f2c7751, v156
	v_fmac_f32_e32 v128, 0x3f3d2fb0, v198
	v_add_f32_e32 v127, v128, v127
	v_mul_f32_e32 v128, 0xbeb8f4ab, v158
	v_fmac_f32_e32 v128, 0x3f6eb680, v210
	v_add_f32_e32 v127, v128, v127
	v_mul_f32_e32 v128, 0xbf7ee86f, v160
	v_fmac_f32_e32 v128, 0x3dbcf732, v221
	v_add_f32_e32 v127, v128, v127
	v_mul_f32_e32 v128, 0xbf06c442, v161
	v_fmac_f32_e32 v128, 0xbf59a7d5, v230
	v_mov_b32_e32 v162, v199
	v_mul_f32_e32 v199, 0xbf65296c, v186
	v_add_f32_e32 v128, v128, v127
	v_fma_f32 v127, v146, s17, -v199
	v_mul_f32_e32 v200, 0xbf4c4adb, v192
	v_add_f32_e32 v127, v92, v127
	v_fma_f32 v129, v147, s18, -v200
	;; [unrolled: 3-line block ×8, first 2 shown]
	v_mul_f32_e32 v235, 0xbf4c4adb, v148
	v_add_f32_e32 v127, v129, v127
	v_mov_b32_e32 v129, v235
	v_mul_f32_e32 v236, 0x3f763a35, v150
	v_fmac_f32_e32 v129, 0xbf1a4643, v176
	v_mov_b32_e32 v130, v236
	v_add_f32_e32 v129, v93, v129
	v_fmac_f32_e32 v130, 0xbe8c1d8e, v181
	v_mul_f32_e32 v237, 0xbeb8f4ab, v152
	v_add_f32_e32 v129, v130, v129
	v_mov_b32_e32 v130, v237
	v_fmac_f32_e32 v130, 0x3f6eb680, v187
	v_mul_f32_e32 v238, 0xbf06c442, v154
	v_add_f32_e32 v129, v130, v129
	v_mov_b32_e32 v130, v238
	;; [unrolled: 4-line block ×6, first 2 shown]
	buffer_store_dword v127, off, s[24:27], 0 offset:24 ; 4-byte Folded Spill
	s_nop 0
	buffer_store_dword v128, off, s[24:27], 0 offset:28 ; 4-byte Folded Spill
	v_fmac_f32_e32 v130, 0x3ee437d1, v230
	v_mul_f32_e32 v214, 0xbf4c4adb, v186
	v_add_f32_e32 v128, v130, v129
	v_fma_f32 v129, v146, s18, -v214
	v_mul_f32_e32 v215, 0x3f763a35, v192
	v_add_f32_e32 v129, v92, v129
	v_fma_f32 v131, v147, s20, -v215
	;; [unrolled: 3-line block ×6, first 2 shown]
	buffer_store_dword v139, off, s[24:27], 0 ; 4-byte Folded Spill
	v_mul_f32_e32 v139, 0xbe3c28d5, v231
	v_add_f32_e32 v129, v131, v129
	v_fma_f32 v131, v157, s19, -v139
	buffer_store_dword v140, off, s[24:27], 0 offset:4 ; 4-byte Folded Spill
	v_mul_f32_e32 v140, 0x3f65296c, v232
	v_add_f32_e32 v129, v131, v129
	v_fma_f32 v131, v159, s17, -v140
	v_mul_f32_e32 v133, 0xbe3c28d5, v148
	v_add_f32_e32 v127, v131, v129
	v_mov_b32_e32 v131, v133
	v_mul_f32_e32 v134, 0x3eb8f4ab, v150
	v_fmac_f32_e32 v131, 0xbf7ba420, v176
	v_mov_b32_e32 v132, v134
	v_add_f32_e32 v131, v93, v131
	v_fmac_f32_e32 v132, 0x3f6eb680, v181
	v_mul_f32_e32 v233, 0xbf06c442, v152
	v_add_f32_e32 v131, v132, v131
	v_mov_b32_e32 v132, v233
	v_fmac_f32_e32 v132, 0xbf59a7d5, v187
	v_mul_f32_e32 v234, 0x3f2c7751, v154
	v_add_f32_e32 v131, v132, v131
	v_mov_b32_e32 v132, v234
	buffer_store_dword v127, off, s[24:27], 0 offset:32 ; 4-byte Folded Spill
	s_nop 0
	buffer_store_dword v128, off, s[24:27], 0 offset:36 ; 4-byte Folded Spill
	v_fmac_f32_e32 v132, 0x3f3d2fb0, v194
	buffer_store_dword v141, off, s[24:27], 0 offset:8 ; 4-byte Folded Spill
	v_mul_f32_e32 v141, 0xbf4c4adb, v156
	v_fma_f32 v133, v176, s19, -v133
	v_add_f32_e32 v131, v132, v131
	v_mov_b32_e32 v132, v141
	v_add_f32_e32 v133, v93, v133
	v_fma_f32 v134, v181, s14, -v134
	v_fmac_f32_e32 v132, 0xbf1a4643, v198
	buffer_store_dword v142, off, s[24:27], 0 offset:12 ; 4-byte Folded Spill
	v_mul_f32_e32 v142, 0x3f65296c, v158
	v_add_f32_e32 v133, v134, v133
	v_fma_f32 v134, v187, s21, -v233
	v_add_f32_e32 v131, v132, v131
	v_mov_b32_e32 v132, v142
	v_add_f32_e32 v133, v134, v133
	v_fma_f32 v134, v194, s15, -v234
	v_fmac_f32_e32 v132, 0x3ee437d1, v210
	buffer_store_dword v143, off, s[24:27], 0 offset:16 ; 4-byte Folded Spill
	v_mul_f32_e32 v143, 0xbf763a35, v160
	v_add_f32_e32 v133, v134, v133
	v_fma_f32 v134, v198, s18, -v141
	v_add_f32_e32 v131, v132, v131
	v_mov_b32_e32 v132, v143
	v_add_f32_e32 v133, v134, v133
	v_fma_f32 v134, v210, s17, -v142
	v_mul_f32_e32 v141, 0xbf59a7d5, v176
	v_fmac_f32_e32 v132, 0xbe8c1d8e, v221
	v_mul_f32_e32 v222, 0x3f7ee86f, v161
	v_add_f32_e32 v133, v134, v133
	v_fma_f32 v134, v221, s20, -v143
	v_mov_b32_e32 v142, v141
	v_mul_f32_e32 v143, 0x3ee437d1, v181
	v_add_f32_e32 v131, v132, v131
	v_mov_b32_e32 v132, v222
	v_add_f32_e32 v133, v134, v133
	v_fma_f32 v134, v230, s16, -v222
	v_fmac_f32_e32 v142, 0x3f06c442, v148
	v_mov_b32_e32 v222, v143
	v_fma_f32 v235, v176, s18, -v235
	v_fmac_f32_e32 v132, 0x3dbcf732, v230
	v_mul_f32_e32 v223, 0xbe3c28d5, v186
	v_add_f32_e32 v142, v93, v142
	v_fmac_f32_e32 v222, 0xbf65296c, v150
	v_add_f32_e32 v235, v93, v235
	v_fma_f32 v236, v181, s20, -v236
	v_add_f32_e32 v132, v132, v131
	v_fma_f32 v131, v146, s19, -v223
	v_fmac_f32_e32 v223, 0xbf7ba420, v146
	v_add_f32_e32 v142, v222, v142
	v_mul_f32_e32 v222, 0x3dbcf732, v187
	v_add_f32_e32 v235, v236, v235
	v_fma_f32 v236, v187, s14, -v237
	v_add_f32_e32 v134, v134, v133
	v_add_f32_e32 v133, v92, v223
	v_mov_b32_e32 v223, v222
	v_add_f32_e32 v235, v236, v235
	v_fma_f32 v236, v194, s21, -v238
	v_mul_f32_e32 v224, 0x3eb8f4ab, v192
	v_fmac_f32_e32 v223, 0x3f7ee86f, v152
	v_add_f32_e32 v235, v236, v235
	v_fma_f32 v236, v198, s16, -v239
	v_fma_f32 v227, v147, s14, -v224
	v_fmac_f32_e32 v224, 0x3f6eb680, v147
	v_add_f32_e32 v142, v223, v142
	v_mul_f32_e32 v223, 0xbf1a4643, v194
	v_add_f32_e32 v235, v236, v235
	v_fma_f32 v236, v210, s15, -v240
	v_add_f32_e32 v131, v92, v131
	v_add_f32_e32 v133, v224, v133
	v_mov_b32_e32 v224, v223
	v_add_f32_e32 v235, v236, v235
	v_fma_f32 v211, v221, s19, -v211
	v_add_f32_e32 v131, v227, v131
	v_mul_f32_e32 v227, 0xbf06c442, v197
	v_fmac_f32_e32 v224, 0xbf4c4adb, v154
	v_add_f32_e32 v211, v211, v235
	v_fma_f32 v212, v230, s17, -v212
	v_fmac_f32_e32 v214, 0xbf1a4643, v146
	v_fma_f32 v228, v149, s21, -v227
	v_fmac_f32_e32 v227, 0xbf59a7d5, v149
	v_add_f32_e32 v142, v224, v142
	v_mul_f32_e32 v224, 0x3f6eb680, v198
	v_add_f32_e32 v236, v212, v211
	v_add_f32_e32 v211, v92, v214
	v_fmac_f32_e32 v215, 0xbe8c1d8e, v147
	v_add_f32_e32 v133, v227, v133
	v_mov_b32_e32 v227, v224
	v_add_f32_e32 v211, v215, v211
	v_fmac_f32_e32 v217, 0x3f6eb680, v149
	v_add_f32_e32 v131, v228, v131
	v_mul_f32_e32 v228, 0x3f2c7751, v206
	v_fmac_f32_e32 v227, 0x3eb8f4ab, v156
	v_add_f32_e32 v211, v217, v211
	v_fmac_f32_e32 v218, 0xbf59a7d5, v151
	v_fma_f32 v229, v151, s15, -v228
	v_fmac_f32_e32 v228, 0x3f3d2fb0, v151
	v_add_f32_e32 v142, v227, v142
	v_mul_f32_e32 v227, 0xbf7ba420, v210
	v_add_f32_e32 v211, v218, v211
	v_fmac_f32_e32 v219, 0x3dbcf732, v153
	v_add_f32_e32 v133, v228, v133
	v_mov_b32_e32 v228, v227
	v_add_f32_e32 v211, v219, v211
	v_fmac_f32_e32 v220, 0x3f3d2fb0, v155
	v_add_f32_e32 v131, v229, v131
	v_mul_f32_e32 v229, 0xbf4c4adb, v216
	v_fmac_f32_e32 v228, 0x3e3c28d5, v158
	v_add_f32_e32 v211, v220, v211
	v_fmac_f32_e32 v139, 0xbf7ba420, v157
	v_fma_f32 v248, v153, s18, -v229
	v_fmac_f32_e32 v229, 0xbf1a4643, v153
	v_add_f32_e32 v142, v228, v142
	v_mul_f32_e32 v228, 0x3f3d2fb0, v221
	v_add_f32_e32 v139, v139, v211
	v_fmac_f32_e32 v140, 0x3ee437d1, v159
	v_add_f32_e32 v133, v229, v133
	v_mov_b32_e32 v229, v228
	v_add_f32_e32 v235, v140, v139
	v_mul_f32_e32 v139, 0xbe8c1d8e, v176
	v_add_f32_e32 v131, v248, v131
	v_mul_f32_e32 v248, 0x3f65296c, v226
	v_fmac_f32_e32 v229, 0xbf2c7751, v160
	v_mov_b32_e32 v140, v139
	v_mul_f32_e32 v211, 0xbf59a7d5, v181
	v_fma_f32 v241, v155, s17, -v248
	v_add_f32_e32 v142, v229, v142
	v_mul_f32_e32 v229, 0xbe8c1d8e, v230
	v_fmac_f32_e32 v140, 0x3f763a35, v148
	v_mov_b32_e32 v212, v211
	v_add_f32_e32 v131, v241, v131
	v_mul_f32_e32 v241, 0xbf763a35, v231
	v_mov_b32_e32 v233, v229
	v_add_f32_e32 v140, v93, v140
	v_fmac_f32_e32 v212, 0xbf06c442, v150
	v_fma_f32 v242, v157, s20, -v241
	v_fmac_f32_e32 v248, 0x3ee437d1, v155
	v_fmac_f32_e32 v233, 0x3f763a35, v161
	v_add_f32_e32 v140, v212, v140
	v_mul_f32_e32 v212, 0x3f3d2fb0, v187
	v_add_f32_e32 v131, v242, v131
	v_mul_f32_e32 v242, 0x3f7ee86f, v232
	v_add_f32_e32 v133, v248, v133
	v_fmac_f32_e32 v241, 0xbe8c1d8e, v157
	v_add_f32_e32 v234, v233, v142
	v_mul_f32_e32 v142, 0xbf06c442, v186
	v_mov_b32_e32 v214, v212
	v_fma_f32 v243, v159, s16, -v242
	v_add_f32_e32 v133, v241, v133
	v_fmac_f32_e32 v242, 0x3dbcf732, v159
	v_mov_b32_e32 v233, v142
	v_mul_f32_e32 v241, 0x3f65296c, v192
	v_fmac_f32_e32 v214, 0xbf2c7751, v152
	v_add_f32_e32 v133, v242, v133
	v_fmac_f32_e32 v233, 0xbf59a7d5, v146
	v_mov_b32_e32 v242, v241
	v_add_f32_e32 v140, v214, v140
	v_mul_f32_e32 v214, 0x3ee437d1, v194
	v_add_f32_e32 v233, v92, v233
	v_fmac_f32_e32 v242, 0x3ee437d1, v147
	v_mov_b32_e32 v215, v214
	v_add_f32_e32 v233, v242, v233
	v_mul_f32_e32 v242, 0xbf7ee86f, v197
	v_fmac_f32_e32 v215, 0x3f65296c, v154
	v_add_f32_e32 v131, v243, v131
	v_mov_b32_e32 v243, v242
	v_add_f32_e32 v140, v215, v140
	v_mul_f32_e32 v215, 0xbf7ba420, v198
	v_fmac_f32_e32 v243, 0x3dbcf732, v149
	v_mov_b32_e32 v217, v215
	v_add_f32_e32 v233, v243, v233
	v_mul_f32_e32 v243, 0x3f4c4adb, v206
	v_fmac_f32_e32 v217, 0x3e3c28d5, v156
	;; [unrolled: 4-line block ×3, first 2 shown]
	v_mul_f32_e32 v225, 0xbeb8f4ab, v216
	v_mov_b32_e32 v218, v217
	v_add_f32_e32 v233, v248, v233
	v_mov_b32_e32 v248, v225
	v_fmac_f32_e32 v218, 0xbf7ee86f, v158
	v_fmac_f32_e32 v248, 0x3f6eb680, v153
	v_mul_f32_e32 v244, 0xbe3c28d5, v226
	v_add_f32_e32 v140, v218, v140
	v_mul_f32_e32 v218, 0x3f6eb680, v221
	v_add_f32_e32 v233, v248, v233
	v_mov_b32_e32 v248, v244
	v_mov_b32_e32 v219, v218
	v_fmac_f32_e32 v248, 0xbf7ba420, v155
	v_mul_f32_e32 v245, 0x3f2c7751, v231
	v_fmac_f32_e32 v219, 0x3eb8f4ab, v160
	v_add_f32_e32 v233, v248, v233
	v_mov_b32_e32 v248, v245
	v_add_f32_e32 v140, v219, v140
	v_mul_f32_e32 v219, 0xbf1a4643, v230
	v_fmac_f32_e32 v248, 0x3f3d2fb0, v157
	v_mul_f32_e32 v246, 0xbf763a35, v232
	v_mov_b32_e32 v220, v219
	v_add_f32_e32 v233, v248, v233
	v_mov_b32_e32 v248, v246
	v_fmac_f32_e32 v220, 0x3f4c4adb, v161
	v_fmac_f32_e32 v248, 0xbe8c1d8e, v159
	v_add_f32_e32 v238, v220, v140
	v_mul_f32_e32 v140, 0xbf763a35, v186
	v_add_f32_e32 v233, v248, v233
	v_mov_b32_e32 v220, v140
	v_mul_f32_e32 v248, 0x3f06c442, v192
	v_fmac_f32_e32 v220, 0xbe8c1d8e, v146
	v_mov_b32_e32 v237, v248
	v_add_f32_e32 v220, v92, v220
	v_fmac_f32_e32 v237, 0xbf59a7d5, v147
	v_mul_f32_e32 v247, 0x3f2c7751, v197
	v_add_f32_e32 v220, v237, v220
	v_mov_b32_e32 v237, v247
	v_fmac_f32_e32 v237, 0x3f3d2fb0, v149
	v_mul_f32_e32 v249, 0xbf65296c, v206
	v_add_f32_e32 v220, v237, v220
	v_mov_b32_e32 v237, v249
	v_fmac_f32_e32 v237, 0x3ee437d1, v151
	buffer_store_dword v144, off, s[24:27], 0 offset:20 ; 4-byte Folded Spill
	v_mul_f32_e32 v144, 0xbe3c28d5, v216
	v_add_f32_e32 v220, v237, v220
	v_mov_b32_e32 v237, v144
	v_fmac_f32_e32 v237, 0xbf7ba420, v153
	v_mov_b32_e32 v130, v145
	v_mul_f32_e32 v145, 0x3f7ee86f, v226
	v_add_f32_e32 v220, v237, v220
	v_mov_b32_e32 v237, v145
	v_fmac_f32_e32 v237, 0x3dbcf732, v155
	v_mov_b32_e32 v129, v136
	;; [unrolled: 5-line block ×3, first 2 shown]
	v_mul_f32_e32 v135, 0xbf4c4adb, v232
	v_add_f32_e32 v220, v237, v220
	v_mov_b32_e32 v237, v135
	v_fmac_f32_e32 v237, 0xbf1a4643, v159
	v_add_f32_e32 v237, v237, v220
	v_mul_f32_e32 v220, 0x3dbcf732, v176
	v_mov_b32_e32 v239, v220
	v_mul_f32_e32 v164, 0xbf7ba420, v181
	v_fmac_f32_e32 v239, 0x3f7ee86f, v148
	v_mov_b32_e32 v240, v164
	v_add_f32_e32 v239, v93, v239
	v_fmac_f32_e32 v240, 0x3e3c28d5, v150
	v_mul_f32_e32 v251, 0xbe8c1d8e, v187
	v_add_f32_e32 v239, v240, v239
	v_mov_b32_e32 v240, v251
	v_fmac_f32_e32 v240, 0xbf763a35, v152
	v_mul_f32_e32 v252, 0x3f6eb680, v194
	v_add_f32_e32 v239, v240, v239
	v_mov_b32_e32 v240, v252
	;; [unrolled: 4-line block ×6, first 2 shown]
	v_mov_b32_e32 v128, v138
	v_mul_f32_e32 v138, 0xbf7ee86f, v186
	v_fmac_f32_e32 v240, 0xbf2c7751, v161
	v_mov_b32_e32 v186, v138
	v_mul_f32_e32 v192, 0xbe3c28d5, v192
	v_add_f32_e32 v240, v240, v239
	v_fmac_f32_e32 v186, 0x3dbcf732, v146
	v_mov_b32_e32 v239, v192
	v_add_f32_e32 v186, v92, v186
	v_fmac_f32_e32 v239, 0xbf7ba420, v147
	v_mul_f32_e32 v197, 0x3f763a35, v197
	v_add_f32_e32 v186, v239, v186
	v_mov_b32_e32 v239, v197
	v_fmac_f32_e32 v239, 0xbe8c1d8e, v149
	v_mul_f32_e32 v206, 0x3eb8f4ab, v206
	v_add_f32_e32 v186, v239, v186
	v_mov_b32_e32 v239, v206
	;; [unrolled: 4-line block ×6, first 2 shown]
	v_fmac_f32_e32 v239, 0x3f3d2fb0, v159
	v_add_f32_e32 v239, v239, v186
	v_mul_f32_e32 v186, 0xbf65296c, v148
	v_fma_f32 v176, v176, s17, -v186
	v_mul_f32_e32 v186, 0xbf4c4adb, v150
	v_add_f32_e32 v176, v93, v176
	v_fma_f32 v181, v181, s18, -v186
	v_add_f32_e32 v176, v181, v176
	v_mul_f32_e32 v181, 0x3e3c28d5, v152
	v_fma_f32 v181, v187, s19, -v181
	v_add_f32_e32 v176, v181, v176
	v_mul_f32_e32 v181, 0x3f763a35, v154
	;; [unrolled: 3-line block ×6, first 2 shown]
	v_fma_f32 v181, v230, s21, -v181
	v_fmac_f32_e32 v199, 0x3ee437d1, v146
	v_add_f32_e32 v187, v181, v176
	v_add_f32_e32 v176, v92, v199
	v_mov_b32_e32 v199, v162
	v_mul_f32_e32 v162, 0xbf2c7751, v148
	v_sub_f32_e32 v170, v170, v162
	v_mul_f32_e32 v162, 0xbf7ee86f, v150
	v_add_f32_e32 v170, v93, v170
	v_sub_f32_e32 v174, v174, v162
	v_mul_f32_e32 v162, 0xbf4c4adb, v152
	v_fmac_f32_e32 v200, 0xbf1a4643, v147
	v_add_f32_e32 v170, v174, v170
	v_sub_f32_e32 v174, v179, v162
	v_mul_f32_e32 v162, 0xbe3c28d5, v154
	v_add_f32_e32 v176, v200, v176
	v_fmac_f32_e32 v203, 0xbf7ba420, v149
	v_add_f32_e32 v170, v174, v170
	v_sub_f32_e32 v174, v184, v162
	v_mul_f32_e32 v162, 0x3f06c442, v156
	v_add_f32_e32 v176, v203, v176
	;; [unrolled: 5-line block ×6, first 2 shown]
	v_fmac_f32_e32 v209, 0xbf59a7d5, v159
	v_add_f32_e32 v167, v162, v167
	v_mul_f32_e32 v162, 0x3dbcf732, v147
	v_add_f32_e32 v186, v209, v176
	v_add_f32_e32 v176, v174, v170
	;; [unrolled: 1-line block ×4, first 2 shown]
	v_mul_f32_e32 v162, 0xbf1a4643, v149
	v_add_f32_e32 v167, v170, v167
	v_add_f32_e32 v170, v162, v175
	v_mul_f32_e32 v162, 0xbf7ba420, v151
	v_add_f32_e32 v167, v170, v167
	v_add_f32_e32 v170, v162, v180
	;; [unrolled: 3-line block ×6, first 2 shown]
	v_mul_f32_e32 v162, 0xbeb8f4ab, v148
	v_sub_f32_e32 v163, v163, v162
	v_mul_f32_e32 v162, 0xbf2c7751, v150
	v_add_f32_e32 v163, v93, v163
	v_sub_f32_e32 v165, v165, v162
	v_mul_f32_e32 v162, 0xbf65296c, v152
	v_add_f32_e32 v163, v165, v163
	;; [unrolled: 3-line block ×8, first 2 shown]
	v_add_f32_e32 v165, v162, v124
	buffer_load_dword v162, off, s[24:27], 0 offset:40 ; 4-byte Folded Reload
	v_add_f32_e32 v94, v94, v92
	v_add_f32_e32 v94, v96, v94
	;; [unrolled: 1-line block ×23, first 2 shown]
	v_fmac_f32_e32 v141, 0xbf06c442, v148
	v_add_f32_e32 v95, v111, v95
	v_add_f32_e32 v88, v88, v94
	;; [unrolled: 1-line block ×3, first 2 shown]
	v_fmac_f32_e32 v143, 0x3f65296c, v150
	v_add_f32_e32 v95, v113, v95
	v_add_f32_e32 v94, v143, v94
	v_fmac_f32_e32 v222, 0xbf7ee86f, v152
	v_add_f32_e32 v95, v115, v95
	v_add_f32_e32 v94, v222, v94
	;; [unrolled: 3-line block ×7, first 2 shown]
	v_fma_f32 v94, v146, s21, -v142
	v_add_f32_e32 v94, v92, v94
	v_fma_f32 v96, v147, s17, -v241
	v_add_f32_e32 v94, v96, v94
	;; [unrolled: 2-line block ×7, first 2 shown]
	v_fma_f32 v96, v159, s20, -v246
	v_fmac_f32_e32 v139, 0xbf763a35, v148
	v_add_f32_e32 v94, v96, v94
	v_add_f32_e32 v96, v93, v139
	v_fmac_f32_e32 v211, 0x3f06c442, v150
	v_add_f32_e32 v96, v211, v96
	v_fmac_f32_e32 v212, 0x3f2c7751, v152
	;; [unrolled: 2-line block ×7, first 2 shown]
	v_add_f32_e32 v97, v219, v96
	v_fma_f32 v96, v146, s20, -v140
	v_add_f32_e32 v96, v92, v96
	v_fma_f32 v98, v147, s21, -v248
	;; [unrolled: 2-line block ×5, first 2 shown]
	buffer_load_dword v144, off, s[24:27], 0 offset:20 ; 4-byte Folded Reload
	v_add_f32_e32 v96, v98, v96
	v_fma_f32 v98, v155, s16, -v145
	v_add_f32_e32 v96, v98, v96
	v_fma_f32 v98, v157, s14, -v136
	;; [unrolled: 2-line block ×4, first 2 shown]
	v_add_f32_e32 v165, v92, v165
	v_mul_f32_e32 v124, 0x3f3d2fb0, v147
	v_add_f32_e32 v92, v92, v98
	v_fma_f32 v98, v147, s19, -v192
	s_waitcnt vmcnt(1)
	v_add_f32_e32 v162, v124, v162
	v_mul_f32_e32 v124, 0x3ee437d1, v149
	buffer_load_dword v143, off, s[24:27], 0 offset:16 ; 4-byte Folded Reload
	v_add_f32_e32 v92, v98, v92
	v_fma_f32 v98, v149, s20, -v197
	v_add_f32_e32 v162, v162, v165
	v_add_f32_e32 v165, v124, v166
	v_mul_f32_e32 v124, 0x3dbcf732, v151
	v_add_f32_e32 v92, v98, v92
	v_fma_f32 v98, v151, s14, -v206
	v_add_f32_e32 v162, v165, v162
	v_add_f32_e32 v165, v124, v169
	v_mul_f32_e32 v124, 0xbe8c1d8e, v153
	;; [unrolled: 5-line block ×5, first 2 shown]
	v_mov_b32_e32 v136, v129
	v_add_f32_e32 v92, v98, v92
	v_fma_f32 v98, v159, s15, -v232
	v_add_f32_e32 v162, v165, v162
	v_add_f32_e32 v165, v124, v188
	;; [unrolled: 1-line block ×3, first 2 shown]
	v_mul_lo_u16_e32 v98, 17, v136
	v_add_f32_e32 v162, v165, v162
	v_lshlrev_b32_e32 v98, 3, v98
	v_add_f32_e32 v175, v170, v167
	buffer_load_dword v141, off, s[24:27], 0 offset:8 ; 4-byte Folded Reload
	buffer_load_dword v142, off, s[24:27], 0 offset:12 ; 4-byte Folded Reload
	buffer_load_dword v139, off, s[24:27], 0 ; 4-byte Folded Reload
	buffer_load_dword v140, off, s[24:27], 0 offset:4 ; 4-byte Folded Reload
	ds_write2_b64 v98, v[88:89], v[162:163] offset1:1
	ds_write2_b64 v98, v[175:176], v[186:187] offset0:2 offset1:3
	ds_write2_b64 v98, v[239:240], v[237:238] offset0:4 offset1:5
	;; [unrolled: 1-line block ×4, first 2 shown]
	buffer_load_dword v88, off, s[24:27], 0 offset:32 ; 4-byte Folded Reload
	buffer_load_dword v89, off, s[24:27], 0 offset:36 ; 4-byte Folded Reload
	v_fmac_f32_e32 v220, 0xbf7ee86f, v148
	v_add_f32_e32 v93, v93, v220
	v_fmac_f32_e32 v164, 0xbe3c28d5, v150
	v_add_f32_e32 v93, v164, v93
	;; [unrolled: 2-line block ×8, first 2 shown]
	s_waitcnt vmcnt(0)
	ds_write2_b64 v98, v[94:95], v[88:89] offset0:10 offset1:11
	ds_write2_b64 v98, v[96:97], v[92:93] offset0:12 offset1:13
	buffer_load_dword v88, off, s[24:27], 0 offset:24 ; 4-byte Folded Reload
	buffer_load_dword v89, off, s[24:27], 0 offset:28 ; 4-byte Folded Reload
	v_mov_b32_e32 v145, v130
	v_mov_b32_e32 v135, v127
	;; [unrolled: 1-line block ×3, first 2 shown]
	s_waitcnt vmcnt(0)
	ds_write2_b64 v98, v[88:89], v[90:91] offset0:14 offset1:15
	ds_write_b64 v98, v[0:1] offset:128
.LBB0_17:
	s_or_b64 exec, exec, s[12:13]
	v_add_u32_e32 v93, 0xc00, v137
	s_waitcnt lgkmcnt(0)
	s_barrier
	ds_read2_b64 v[102:105], v93 offset0:92 offset1:211
	v_add_u32_e32 v92, 0x2400, v137
	v_add_u32_e32 v95, 0x1400, v137
	ds_read2_b64 v[106:109], v92 offset0:38 offset1:157
	ds_read2_b64 v[110:113], v95 offset0:74 offset1:193
	v_add_u32_e32 v94, 0x2c00, v137
	ds_read2_b64 v[118:121], v94 offset0:20 offset1:139
	v_add_u32_e32 v97, 0x400, v137
	v_add_u32_e32 v96, 0x1c00, v137
	s_waitcnt lgkmcnt(3)
	v_mul_f32_e32 v122, v25, v105
	v_mul_f32_e32 v25, v25, v104
	ds_read2_b64 v[98:101], v137 offset1:119
	ds_read2_b64 v[114:117], v97 offset0:110 offset1:229
	ds_read2_b64 v[127:130], v96 offset0:56 offset1:175
	ds_read_b64 v[88:89], v137 offset:13328
	v_fmac_f32_e32 v122, v24, v104
	v_fma_f32 v25, v24, v105, -v25
	s_waitcnt lgkmcnt(6)
	v_mul_f32_e32 v104, v27, v107
	v_mul_f32_e32 v24, v27, v106
	s_waitcnt lgkmcnt(5)
	v_mul_f32_e32 v105, v21, v111
	v_mul_f32_e32 v21, v21, v110
	v_fmac_f32_e32 v104, v26, v106
	v_fma_f32 v26, v26, v107, -v24
	v_fmac_f32_e32 v105, v20, v110
	v_fma_f32 v106, v20, v111, -v21
	v_mul_f32_e32 v107, v23, v109
	v_mul_f32_e32 v20, v23, v108
	v_fmac_f32_e32 v107, v22, v108
	v_fma_f32 v108, v22, v109, -v20
	v_mul_f32_e32 v20, v29, v112
	v_mul_f32_e32 v109, v29, v113
	v_fma_f32 v110, v28, v113, -v20
	s_waitcnt lgkmcnt(4)
	v_mul_f32_e32 v20, v31, v118
	v_fmac_f32_e32 v109, v28, v112
	v_mul_f32_e32 v111, v31, v119
	v_fma_f32 v112, v30, v119, -v20
	s_waitcnt lgkmcnt(1)
	v_mul_f32_e32 v20, v33, v127
	v_fmac_f32_e32 v111, v30, v118
	v_mul_f32_e32 v113, v33, v128
	v_fma_f32 v118, v32, v128, -v20
	v_mul_f32_e32 v119, v35, v121
	v_mul_f32_e32 v20, v35, v120
	v_add_f32_e32 v33, v110, v112
	v_fmac_f32_e32 v113, v32, v127
	v_fmac_f32_e32 v119, v34, v120
	v_fma_f32 v120, v34, v121, -v20
	v_mul_f32_e32 v121, v37, v130
	v_mul_f32_e32 v20, v37, v129
	v_add_f32_e32 v21, v122, v104
	v_fma_f32 v33, -0.5, v33, v115
	v_fmac_f32_e32 v121, v36, v129
	v_fma_f32 v123, v36, v130, -v20
	v_fma_f32 v22, -0.5, v21, v98
	v_sub_f32_e32 v36, v109, v111
	v_mov_b32_e32 v35, v33
	v_add_f32_e32 v37, v113, v119
	s_waitcnt lgkmcnt(0)
	v_mul_f32_e32 v124, v39, v89
	v_mul_f32_e32 v20, v39, v88
	v_sub_f32_e32 v21, v25, v26
	v_mov_b32_e32 v24, v22
	v_add_f32_e32 v23, v25, v26
	v_fmac_f32_e32 v35, 0x3f5db3d7, v36
	v_fmac_f32_e32 v33, 0xbf5db3d7, v36
	v_add_f32_e32 v36, v116, v113
	v_fma_f32 v116, -0.5, v37, v116
	v_fmac_f32_e32 v124, v38, v88
	v_fma_f32 v127, v38, v89, -v20
	v_fmac_f32_e32 v24, 0xbf5db3d7, v21
	v_fmac_f32_e32 v22, 0x3f5db3d7, v21
	v_add_f32_e32 v21, v99, v25
	v_fma_f32 v23, -0.5, v23, v99
	v_sub_f32_e32 v37, v118, v120
	v_mov_b32_e32 v38, v116
	v_add_f32_e32 v39, v118, v120
	v_add_f32_e32 v21, v21, v26
	v_sub_f32_e32 v26, v122, v104
	v_mov_b32_e32 v25, v23
	v_add_f32_e32 v27, v105, v107
	v_fmac_f32_e32 v38, 0xbf5db3d7, v37
	v_fmac_f32_e32 v116, 0x3f5db3d7, v37
	v_add_f32_e32 v37, v117, v118
	v_fmac_f32_e32 v117, -0.5, v39
	v_fmac_f32_e32 v25, 0x3f5db3d7, v26
	v_fmac_f32_e32 v23, 0xbf5db3d7, v26
	v_add_f32_e32 v26, v100, v105
	v_fma_f32 v100, -0.5, v27, v100
	v_sub_f32_e32 v88, v113, v119
	v_mov_b32_e32 v39, v117
	v_add_f32_e32 v89, v121, v124
	v_sub_f32_e32 v27, v106, v108
	v_mov_b32_e32 v28, v100
	v_add_f32_e32 v29, v106, v108
	v_add_f32_e32 v31, v109, v111
	v_fmac_f32_e32 v39, 0x3f5db3d7, v88
	v_fmac_f32_e32 v117, 0xbf5db3d7, v88
	v_add_f32_e32 v88, v102, v121
	v_fma_f32 v102, -0.5, v89, v102
	v_add_f32_e32 v20, v98, v122
	v_fmac_f32_e32 v28, 0xbf5db3d7, v27
	v_fmac_f32_e32 v100, 0x3f5db3d7, v27
	v_add_f32_e32 v27, v101, v106
	v_fmac_f32_e32 v101, -0.5, v29
	v_fma_f32 v32, -0.5, v31, v114
	v_sub_f32_e32 v89, v123, v127
	v_mov_b32_e32 v98, v102
	v_add_f32_e32 v99, v123, v127
	v_sub_f32_e32 v30, v105, v107
	v_mov_b32_e32 v29, v101
	v_sub_f32_e32 v31, v110, v112
	v_mov_b32_e32 v34, v32
	v_fmac_f32_e32 v98, 0xbf5db3d7, v89
	v_fmac_f32_e32 v102, 0x3f5db3d7, v89
	v_add_f32_e32 v89, v103, v123
	v_fmac_f32_e32 v103, -0.5, v99
	v_add_f32_e32 v20, v20, v104
	v_fmac_f32_e32 v29, 0x3f5db3d7, v30
	v_fmac_f32_e32 v101, 0xbf5db3d7, v30
	v_add_f32_e32 v30, v114, v109
	v_fmac_f32_e32 v34, 0xbf5db3d7, v31
	v_fmac_f32_e32 v32, 0x3f5db3d7, v31
	v_add_f32_e32 v31, v115, v110
	v_sub_f32_e32 v104, v121, v124
	v_mov_b32_e32 v99, v103
	v_add_f32_e32 v26, v26, v107
	v_add_f32_e32 v27, v27, v108
	;; [unrolled: 1-line block ×8, first 2 shown]
	v_fmac_f32_e32 v99, 0x3f5db3d7, v104
	v_fmac_f32_e32 v103, 0xbf5db3d7, v104
	s_barrier
	ds_write2_b64 v138, v[20:21], v[24:25] offset1:17
	ds_write_b64 v138, v[22:23] offset:272
	ds_write2_b64 v139, v[26:27], v[28:29] offset1:17
	ds_write_b64 v139, v[100:101] offset:272
	;; [unrolled: 2-line block ×5, first 2 shown]
	s_waitcnt lgkmcnt(0)
	s_barrier
	ds_read2_b64 v[20:23], v137 offset1:119
	ds_read2_b64 v[24:27], v97 offset0:110 offset1:229
	ds_read2_b64 v[28:31], v95 offset0:74 offset1:193
	;; [unrolled: 1-line block ×6, first 2 shown]
	ds_read_b64 v[88:89], v137 offset:13328
	s_waitcnt lgkmcnt(6)
	v_mul_f32_e32 v106, v45, v27
	v_fmac_f32_e32 v106, v44, v26
	v_mul_f32_e32 v26, v45, v26
	v_fma_f32 v44, v44, v27, -v26
	s_waitcnt lgkmcnt(5)
	v_mul_f32_e32 v45, v47, v29
	v_mul_f32_e32 v26, v47, v28
	v_fmac_f32_e32 v45, v46, v28
	v_fma_f32 v46, v46, v29, -v26
	s_waitcnt lgkmcnt(4)
	v_mul_f32_e32 v47, v41, v35
	v_mul_f32_e32 v26, v41, v34
	v_fmac_f32_e32 v47, v40, v34
	;; [unrolled: 5-line block ×3, first 2 shown]
	v_fma_f32 v36, v42, v37, -v26
	s_waitcnt lgkmcnt(2)
	v_mul_f32_e32 v26, v53, v98
	v_mul_f32_e32 v41, v53, v99
	v_fma_f32 v42, v52, v99, -v26
	v_mul_f32_e32 v26, v55, v30
	v_fmac_f32_e32 v41, v52, v98
	v_fma_f32 v52, v54, v31, -v26
	s_waitcnt lgkmcnt(1)
	v_mul_f32_e32 v53, v49, v103
	v_mul_f32_e32 v26, v49, v102
	v_add_f32_e32 v27, v45, v47
	v_mul_f32_e32 v43, v55, v31
	v_fmac_f32_e32 v53, v48, v102
	v_fma_f32 v48, v48, v103, -v26
	v_mul_f32_e32 v49, v51, v39
	v_mul_f32_e32 v26, v51, v38
	v_fma_f32 v28, -0.5, v27, v20
	v_fmac_f32_e32 v43, v54, v30
	v_fmac_f32_e32 v49, v50, v38
	v_fma_f32 v50, v50, v39, -v26
	v_mul_f32_e32 v26, v61, v100
	v_mul_f32_e32 v55, v63, v33
	v_sub_f32_e32 v27, v44, v36
	v_mov_b32_e32 v30, v28
	v_mul_f32_e32 v51, v61, v101
	v_fma_f32 v54, v60, v101, -v26
	v_fmac_f32_e32 v55, v62, v32
	v_mul_f32_e32 v26, v63, v32
	v_fmac_f32_e32 v30, 0xbf737871, v27
	v_sub_f32_e32 v29, v46, v34
	v_sub_f32_e32 v31, v106, v45
	;; [unrolled: 1-line block ×3, first 2 shown]
	v_fmac_f32_e32 v28, 0x3f737871, v27
	v_fmac_f32_e32 v51, v60, v100
	v_fma_f32 v60, v62, v33, -v26
	v_mul_f32_e32 v61, v57, v105
	v_mul_f32_e32 v26, v57, v104
	v_fmac_f32_e32 v30, 0xbf167918, v29
	v_add_f32_e32 v31, v31, v32
	v_fmac_f32_e32 v28, 0x3f167918, v29
	v_fmac_f32_e32 v61, v56, v104
	v_fma_f32 v56, v56, v105, -v26
	s_waitcnt lgkmcnt(0)
	v_mul_f32_e32 v57, v59, v89
	v_mul_f32_e32 v26, v59, v88
	v_fmac_f32_e32 v30, 0x3e9e377a, v31
	v_fmac_f32_e32 v28, 0x3e9e377a, v31
	v_add_f32_e32 v31, v106, v35
	v_fmac_f32_e32 v57, v58, v88
	v_fma_f32 v58, v58, v89, -v26
	v_add_f32_e32 v26, v20, v106
	v_fma_f32 v20, -0.5, v31, v20
	v_mov_b32_e32 v32, v20
	v_add_f32_e32 v26, v26, v45
	v_fmac_f32_e32 v32, 0x3f737871, v29
	v_sub_f32_e32 v31, v45, v106
	v_sub_f32_e32 v33, v47, v35
	v_fmac_f32_e32 v20, 0xbf737871, v29
	v_add_f32_e32 v29, v46, v34
	v_add_f32_e32 v26, v26, v47
	v_fmac_f32_e32 v32, 0xbf167918, v27
	v_add_f32_e32 v31, v31, v33
	v_fmac_f32_e32 v20, 0x3f167918, v27
	v_fma_f32 v29, -0.5, v29, v21
	v_add_f32_e32 v26, v26, v35
	v_fmac_f32_e32 v32, 0x3e9e377a, v31
	v_fmac_f32_e32 v20, 0x3e9e377a, v31
	v_sub_f32_e32 v35, v106, v35
	v_mov_b32_e32 v31, v29
	v_fmac_f32_e32 v31, 0x3f737871, v35
	v_sub_f32_e32 v37, v45, v47
	v_sub_f32_e32 v33, v44, v46
	;; [unrolled: 1-line block ×3, first 2 shown]
	v_fmac_f32_e32 v29, 0xbf737871, v35
	v_fmac_f32_e32 v31, 0x3f167918, v37
	v_add_f32_e32 v33, v33, v38
	v_fmac_f32_e32 v29, 0xbf167918, v37
	v_fmac_f32_e32 v31, 0x3e9e377a, v33
	;; [unrolled: 1-line block ×3, first 2 shown]
	v_add_f32_e32 v33, v44, v36
	v_add_f32_e32 v27, v21, v44
	v_fma_f32 v21, -0.5, v33, v21
	v_mov_b32_e32 v33, v21
	v_add_f32_e32 v27, v27, v46
	v_fmac_f32_e32 v33, 0xbf737871, v37
	v_fmac_f32_e32 v21, 0x3f737871, v37
	v_add_f32_e32 v27, v27, v34
	v_fmac_f32_e32 v33, 0x3f167918, v35
	v_fmac_f32_e32 v21, 0xbf167918, v35
	v_add_f32_e32 v35, v43, v53
	v_add_f32_e32 v27, v27, v36
	v_sub_f32_e32 v38, v46, v44
	v_sub_f32_e32 v34, v34, v36
	v_fma_f32 v36, -0.5, v35, v22
	v_add_f32_e32 v34, v38, v34
	v_sub_f32_e32 v35, v42, v50
	v_mov_b32_e32 v38, v36
	v_fmac_f32_e32 v38, 0xbf737871, v35
	v_sub_f32_e32 v37, v52, v48
	v_sub_f32_e32 v39, v41, v43
	v_sub_f32_e32 v40, v49, v53
	v_fmac_f32_e32 v36, 0x3f737871, v35
	v_fmac_f32_e32 v38, 0xbf167918, v37
	v_add_f32_e32 v39, v39, v40
	v_fmac_f32_e32 v36, 0x3f167918, v37
	v_fmac_f32_e32 v38, 0x3e9e377a, v39
	;; [unrolled: 1-line block ×3, first 2 shown]
	v_add_f32_e32 v39, v41, v49
	v_fmac_f32_e32 v33, 0x3e9e377a, v34
	v_fmac_f32_e32 v21, 0x3e9e377a, v34
	v_add_f32_e32 v34, v22, v41
	v_fma_f32 v22, -0.5, v39, v22
	v_mov_b32_e32 v40, v22
	v_fmac_f32_e32 v40, 0x3f737871, v37
	v_sub_f32_e32 v39, v43, v41
	v_sub_f32_e32 v44, v53, v49
	v_fmac_f32_e32 v22, 0xbf737871, v37
	v_add_f32_e32 v37, v52, v48
	v_fmac_f32_e32 v40, 0xbf167918, v35
	v_add_f32_e32 v39, v39, v44
	v_fmac_f32_e32 v22, 0x3f167918, v35
	v_fma_f32 v37, -0.5, v37, v23
	v_fmac_f32_e32 v40, 0x3e9e377a, v39
	v_fmac_f32_e32 v22, 0x3e9e377a, v39
	v_sub_f32_e32 v44, v41, v49
	v_mov_b32_e32 v39, v37
	v_add_f32_e32 v34, v34, v43
	v_fmac_f32_e32 v39, 0x3f737871, v44
	v_sub_f32_e32 v43, v43, v53
	v_sub_f32_e32 v41, v42, v52
	;; [unrolled: 1-line block ×3, first 2 shown]
	v_fmac_f32_e32 v37, 0xbf737871, v44
	v_fmac_f32_e32 v39, 0x3f167918, v43
	v_add_f32_e32 v41, v41, v45
	v_fmac_f32_e32 v37, 0xbf167918, v43
	v_fmac_f32_e32 v39, 0x3e9e377a, v41
	;; [unrolled: 1-line block ×3, first 2 shown]
	v_add_f32_e32 v41, v42, v50
	v_add_f32_e32 v35, v23, v42
	v_fmac_f32_e32 v23, -0.5, v41
	v_mov_b32_e32 v41, v23
	v_fmac_f32_e32 v41, 0xbf737871, v43
	v_fmac_f32_e32 v23, 0x3f737871, v43
	v_add_f32_e32 v43, v55, v61
	v_fma_f32 v88, -0.5, v43, v24
	v_fmac_f32_e32 v41, 0x3f167918, v44
	v_sub_f32_e32 v42, v52, v42
	v_sub_f32_e32 v45, v48, v50
	v_fmac_f32_e32 v23, 0xbf167918, v44
	v_sub_f32_e32 v43, v54, v58
	v_mov_b32_e32 v44, v88
	v_add_f32_e32 v42, v42, v45
	v_fmac_f32_e32 v44, 0xbf737871, v43
	v_sub_f32_e32 v45, v60, v56
	v_sub_f32_e32 v46, v51, v55
	;; [unrolled: 1-line block ×3, first 2 shown]
	v_fmac_f32_e32 v88, 0x3f737871, v43
	v_fmac_f32_e32 v44, 0xbf167918, v45
	v_add_f32_e32 v46, v46, v47
	v_fmac_f32_e32 v88, 0x3f167918, v45
	v_fmac_f32_e32 v44, 0x3e9e377a, v46
	;; [unrolled: 1-line block ×3, first 2 shown]
	v_add_f32_e32 v46, v51, v57
	v_fmac_f32_e32 v41, 0x3e9e377a, v42
	v_fmac_f32_e32 v23, 0x3e9e377a, v42
	v_add_f32_e32 v42, v24, v51
	v_fma_f32 v24, -0.5, v46, v24
	v_mov_b32_e32 v46, v24
	v_add_f32_e32 v35, v35, v52
	v_fmac_f32_e32 v46, 0x3f737871, v45
	v_fmac_f32_e32 v24, 0xbf737871, v45
	v_add_f32_e32 v45, v60, v56
	v_add_f32_e32 v35, v35, v48
	v_sub_f32_e32 v47, v55, v51
	v_sub_f32_e32 v48, v61, v57
	v_fma_f32 v89, -0.5, v45, v25
	v_add_f32_e32 v34, v34, v53
	v_fmac_f32_e32 v46, 0xbf167918, v43
	v_add_f32_e32 v47, v47, v48
	v_fmac_f32_e32 v24, 0x3f167918, v43
	v_sub_f32_e32 v48, v51, v57
	v_mov_b32_e32 v45, v89
	v_add_f32_e32 v34, v34, v49
	v_add_f32_e32 v35, v35, v50
	v_fmac_f32_e32 v46, 0x3e9e377a, v47
	v_fmac_f32_e32 v24, 0x3e9e377a, v47
	;; [unrolled: 1-line block ×3, first 2 shown]
	v_sub_f32_e32 v49, v55, v61
	v_sub_f32_e32 v47, v54, v60
	;; [unrolled: 1-line block ×3, first 2 shown]
	v_fmac_f32_e32 v89, 0xbf737871, v48
	v_fmac_f32_e32 v45, 0x3f167918, v49
	v_add_f32_e32 v47, v47, v50
	v_fmac_f32_e32 v89, 0xbf167918, v49
	v_fmac_f32_e32 v45, 0x3e9e377a, v47
	;; [unrolled: 1-line block ×3, first 2 shown]
	v_add_f32_e32 v47, v54, v58
	v_add_f32_e32 v43, v25, v54
	v_fmac_f32_e32 v25, -0.5, v47
	v_mov_b32_e32 v47, v25
	v_add_f32_e32 v42, v42, v55
	v_add_f32_e32 v43, v43, v60
	v_fmac_f32_e32 v47, 0xbf737871, v49
	v_sub_f32_e32 v50, v60, v54
	v_sub_f32_e32 v51, v56, v58
	v_fmac_f32_e32 v25, 0x3f737871, v49
	v_add_f32_e32 v42, v42, v61
	v_add_f32_e32 v43, v43, v56
	v_fmac_f32_e32 v47, 0x3f167918, v48
	v_add_f32_e32 v50, v50, v51
	v_fmac_f32_e32 v25, 0xbf167918, v48
	v_add_f32_e32 v42, v42, v57
	v_add_f32_e32 v43, v43, v58
	v_fmac_f32_e32 v47, 0x3e9e377a, v50
	v_fmac_f32_e32 v25, 0x3e9e377a, v50
	s_barrier
	ds_write2_b64 v143, v[26:27], v[30:31] offset1:51
	ds_write2_b64 v143, v[32:33], v[20:21] offset0:102 offset1:153
	ds_write_b64 v143, v[28:29] offset:1632
	ds_write2_b64 v144, v[34:35], v[38:39] offset1:51
	ds_write2_b64 v144, v[40:41], v[22:23] offset0:102 offset1:153
	ds_write_b64 v144, v[36:37] offset:1632
	;; [unrolled: 3-line block ×3, first 2 shown]
	s_waitcnt lgkmcnt(0)
	s_barrier
	ds_read2_b64 v[20:23], v137 offset1:119
	ds_read2_b64 v[44:47], v97 offset0:127 offset1:246
	ds_read2_b64 v[40:43], v93 offset0:126 offset1:245
	;; [unrolled: 1-line block ×6, first 2 shown]
	s_and_saveexec_b64 s[12:13], s[2:3]
	s_cbranch_execz .LBB0_19
; %bb.18:
	v_add_u32_e32 v0, 0x770, v137
	ds_read2_b64 v[88:91], v0 offset1:255
	v_add_u32_e32 v0, 0x1760, v137
	v_add_u32_e32 v4, 0x2750, v137
	ds_read2_b64 v[0:3], v0 offset1:255
	ds_read2_b64 v[4:7], v4 offset1:255
	ds_read_b64 v[125:126], v137 offset:14144
.LBB0_19:
	s_or_b64 exec, exec, s[12:13]
	s_waitcnt lgkmcnt(5)
	v_mul_f32_e32 v48, v69, v45
	v_fmac_f32_e32 v48, v68, v44
	v_mul_f32_e32 v44, v69, v44
	v_fma_f32 v44, v68, v45, -v44
	s_waitcnt lgkmcnt(4)
	v_mul_f32_e32 v45, v71, v41
	v_fmac_f32_e32 v45, v70, v40
	v_mul_f32_e32 v40, v71, v40
	v_fma_f32 v40, v70, v41, -v40
	;; [unrolled: 5-line block ×6, first 2 shown]
	v_mul_f32_e32 v49, v85, v47
	v_mul_f32_e32 v25, v85, v46
	v_fmac_f32_e32 v49, v84, v46
	v_fma_f32 v46, v84, v47, -v25
	v_mul_f32_e32 v47, v87, v43
	v_mul_f32_e32 v25, v87, v42
	v_fmac_f32_e32 v47, v86, v42
	v_fma_f32 v42, v86, v43, -v25
	;; [unrolled: 4-line block ×3, first 2 shown]
	v_mul_f32_e32 v25, v79, v34
	v_fma_f32 v50, v78, v35, -v25
	v_mul_f32_e32 v25, v73, v30
	v_fma_f32 v52, v72, v31, -v25
	v_mul_f32_e32 v25, v75, v26
	v_mul_f32_e32 v39, v79, v35
	;; [unrolled: 1-line block ×4, first 2 shown]
	v_fma_f32 v54, v74, v27, -v25
	v_add_f32_e32 v25, v48, v29
	v_sub_f32_e32 v27, v48, v29
	v_add_f32_e32 v29, v45, v33
	v_fmac_f32_e32 v39, v78, v34
	v_fmac_f32_e32 v51, v72, v30
	;; [unrolled: 1-line block ×3, first 2 shown]
	v_add_f32_e32 v26, v44, v24
	v_add_f32_e32 v30, v40, v28
	v_sub_f32_e32 v31, v45, v33
	v_add_f32_e32 v33, v41, v37
	v_add_f32_e32 v34, v36, v32
	v_sub_f32_e32 v32, v32, v36
	v_add_f32_e32 v36, v29, v25
	v_sub_f32_e32 v28, v40, v28
	v_sub_f32_e32 v35, v37, v41
	v_add_f32_e32 v37, v30, v26
	v_sub_f32_e32 v40, v29, v25
	v_sub_f32_e32 v25, v25, v33
	;; [unrolled: 1-line block ×3, first 2 shown]
	v_add_f32_e32 v33, v33, v36
	v_sub_f32_e32 v41, v30, v26
	v_sub_f32_e32 v26, v26, v34
	;; [unrolled: 1-line block ×3, first 2 shown]
	v_add_f32_e32 v34, v34, v37
	v_add_f32_e32 v20, v20, v33
	v_sub_f32_e32 v24, v44, v24
	v_add_f32_e32 v44, v35, v31
	v_sub_f32_e32 v48, v35, v31
	v_sub_f32_e32 v31, v31, v27
	v_add_f32_e32 v21, v21, v34
	v_mov_b32_e32 v56, v20
	v_add_f32_e32 v45, v32, v28
	v_sub_f32_e32 v55, v32, v28
	v_sub_f32_e32 v35, v27, v35
	;; [unrolled: 1-line block ×3, first 2 shown]
	v_add_f32_e32 v27, v44, v27
	v_mul_f32_e32 v25, 0x3f4a47b2, v25
	v_mul_f32_e32 v26, 0x3f4a47b2, v26
	;; [unrolled: 1-line block ×5, first 2 shown]
	s_mov_b32 s14, 0xbf5ff5aa
	v_mul_f32_e32 v48, 0xbf5ff5aa, v31
	v_fmac_f32_e32 v56, 0xbf955555, v33
	v_mov_b32_e32 v33, v21
	s_mov_b32 s15, 0x3f3bfb3b
	s_mov_b32 s16, 0xbf3bfb3b
	;; [unrolled: 1-line block ×3, first 2 shown]
	v_sub_f32_e32 v32, v24, v32
	v_add_f32_e32 v24, v45, v24
	v_mul_f32_e32 v45, 0x3f08b237, v55
	v_mul_f32_e32 v55, 0xbf5ff5aa, v28
	v_fmac_f32_e32 v33, 0xbf955555, v34
	v_fma_f32 v34, v40, s15, -v36
	v_fma_f32 v36, v41, s15, -v37
	;; [unrolled: 1-line block ×3, first 2 shown]
	v_fmac_f32_e32 v25, 0x3d64c772, v29
	v_fma_f32 v29, v41, s16, -v26
	v_fmac_f32_e32 v26, 0x3d64c772, v30
	v_fma_f32 v31, v31, s14, -v44
	v_fmac_f32_e32 v44, 0xbeae86e6, v35
	v_fma_f32 v35, v35, s17, -v48
	v_fma_f32 v30, v28, s14, -v45
	v_fmac_f32_e32 v45, 0xbeae86e6, v32
	v_fma_f32 v32, v32, s17, -v55
	v_add_f32_e32 v41, v26, v33
	v_add_f32_e32 v36, v36, v33
	;; [unrolled: 1-line block ×3, first 2 shown]
	v_fmac_f32_e32 v44, 0xbee1c552, v27
	v_fmac_f32_e32 v31, 0xbee1c552, v27
	;; [unrolled: 1-line block ×3, first 2 shown]
	v_add_f32_e32 v40, v25, v56
	v_add_f32_e32 v34, v34, v56
	;; [unrolled: 1-line block ×3, first 2 shown]
	v_fmac_f32_e32 v45, 0xbee1c552, v24
	v_fmac_f32_e32 v30, 0xbee1c552, v24
	;; [unrolled: 1-line block ×3, first 2 shown]
	v_sub_f32_e32 v25, v41, v44
	v_sub_f32_e32 v27, v33, v35
	v_add_f32_e32 v29, v31, v36
	v_sub_f32_e32 v31, v36, v31
	v_add_f32_e32 v33, v35, v33
	v_add_f32_e32 v35, v44, v41
	;; [unrolled: 1-line block ×6, first 2 shown]
	v_sub_f32_e32 v28, v34, v30
	v_add_f32_e32 v30, v30, v34
	v_sub_f32_e32 v32, v37, v32
	v_sub_f32_e32 v34, v40, v45
	v_add_f32_e32 v37, v46, v54
	v_sub_f32_e32 v41, v46, v54
	v_add_f32_e32 v45, v42, v52
	;; [unrolled: 2-line block ×5, first 2 shown]
	v_add_f32_e32 v49, v45, v37
	v_add_f32_e32 v43, v47, v43
	v_sub_f32_e32 v42, v42, v52
	v_sub_f32_e32 v38, v50, v38
	;; [unrolled: 1-line block ×5, first 2 shown]
	v_add_f32_e32 v47, v48, v49
	v_add_f32_e32 v22, v22, v43
	v_sub_f32_e32 v51, v45, v37
	v_sub_f32_e32 v37, v37, v48
	;; [unrolled: 1-line block ×3, first 2 shown]
	v_add_f32_e32 v52, v39, v46
	v_add_f32_e32 v53, v38, v42
	v_sub_f32_e32 v54, v39, v46
	v_sub_f32_e32 v55, v38, v42
	;; [unrolled: 1-line block ×4, first 2 shown]
	v_add_f32_e32 v23, v23, v47
	v_mov_b32_e32 v56, v22
	v_sub_f32_e32 v39, v40, v39
	v_sub_f32_e32 v38, v41, v38
	v_add_f32_e32 v40, v52, v40
	v_add_f32_e32 v41, v53, v41
	v_mul_f32_e32 v36, 0x3f4a47b2, v36
	v_mul_f32_e32 v37, 0x3f4a47b2, v37
	;; [unrolled: 1-line block ×8, first 2 shown]
	v_fmac_f32_e32 v56, 0xbf955555, v43
	v_mov_b32_e32 v43, v23
	v_fmac_f32_e32 v43, 0xbf955555, v47
	v_fma_f32 v47, v50, s15, -v48
	v_fma_f32 v48, v51, s15, -v49
	;; [unrolled: 1-line block ×3, first 2 shown]
	v_fmac_f32_e32 v36, 0x3d64c772, v44
	v_fma_f32 v44, v51, s16, -v37
	v_fmac_f32_e32 v37, 0x3d64c772, v45
	v_fma_f32 v45, v46, s14, -v52
	;; [unrolled: 2-line block ×4, first 2 shown]
	v_fma_f32 v50, v38, s17, -v55
	v_add_f32_e32 v51, v36, v56
	v_add_f32_e32 v54, v37, v43
	;; [unrolled: 1-line block ×6, first 2 shown]
	v_fmac_f32_e32 v52, 0xbee1c552, v40
	v_fmac_f32_e32 v53, 0xbee1c552, v41
	;; [unrolled: 1-line block ×6, first 2 shown]
	v_add_f32_e32 v36, v53, v51
	v_sub_f32_e32 v37, v54, v52
	v_add_f32_e32 v38, v50, v49
	v_sub_f32_e32 v39, v55, v46
	v_sub_f32_e32 v40, v47, v42
	v_add_f32_e32 v41, v45, v48
	v_add_f32_e32 v42, v42, v47
	v_sub_f32_e32 v43, v48, v45
	v_sub_f32_e32 v44, v49, v50
	v_add_f32_e32 v45, v46, v55
	v_sub_f32_e32 v46, v51, v53
	v_add_f32_e32 v47, v52, v54
	ds_write2_b64 v137, v[20:21], v[22:23] offset1:119
	ds_write2_b64 v97, v[24:25], v[36:37] offset0:127 offset1:246
	ds_write2_b64 v93, v[26:27], v[38:39] offset0:126 offset1:245
	;; [unrolled: 1-line block ×6, first 2 shown]
	s_and_saveexec_b64 s[12:13], s[2:3]
	s_cbranch_execz .LBB0_21
; %bb.20:
	v_mul_f32_e32 v24, v13, v3
	v_fmac_f32_e32 v24, v12, v2
	v_mul_f32_e32 v2, v13, v2
	v_mul_f32_e32 v20, v9, v91
	;; [unrolled: 1-line block ×6, first 2 shown]
	v_fma_f32 v2, v12, v3, -v2
	v_mul_f32_e32 v3, v15, v4
	v_fmac_f32_e32 v20, v8, v90
	v_fmac_f32_e32 v21, v18, v125
	;; [unrolled: 1-line block ×3, first 2 shown]
	v_mul_f32_e32 v27, v11, v1
	v_mul_f32_e32 v28, v17, v7
	v_fma_f32 v18, v18, v126, -v19
	v_fma_f32 v8, v8, v91, -v9
	;; [unrolled: 1-line block ×3, first 2 shown]
	v_fmac_f32_e32 v27, v10, v0
	v_fmac_f32_e32 v28, v16, v6
	v_add_f32_e32 v9, v18, v8
	v_add_f32_e32 v3, v2, v4
	v_mul_f32_e32 v6, v17, v6
	v_mul_f32_e32 v0, v11, v0
	v_sub_f32_e32 v5, v9, v3
	v_fma_f32 v6, v16, v7, -v6
	v_fma_f32 v7, v10, v1, -v0
	v_mul_f32_e32 v5, 0x3f4a47b2, v5
	v_add_f32_e32 v10, v6, v7
	v_sub_f32_e32 v0, v3, v10
	v_mov_b32_e32 v12, v5
	v_mul_f32_e32 v11, 0x3d64c772, v0
	v_fmac_f32_e32 v12, 0x3d64c772, v0
	v_add_f32_e32 v0, v10, v9
	v_add_f32_e32 v0, v3, v0
	;; [unrolled: 1-line block ×3, first 2 shown]
	v_mov_b32_e32 v13, v1
	v_fmac_f32_e32 v13, 0xbf955555, v0
	v_add_f32_e32 v14, v21, v20
	v_add_f32_e32 v0, v24, v23
	v_sub_f32_e32 v15, v14, v0
	v_mul_f32_e32 v15, 0x3f4a47b2, v15
	v_add_f32_e32 v16, v28, v27
	v_sub_f32_e32 v22, v20, v21
	v_sub_f32_e32 v17, v0, v16
	v_mov_b32_e32 v20, v15
	v_mul_f32_e32 v19, 0x3d64c772, v17
	v_fmac_f32_e32 v20, 0x3d64c772, v17
	v_add_f32_e32 v17, v16, v14
	v_add_f32_e32 v17, v0, v17
	v_sub_f32_e32 v25, v23, v24
	v_sub_f32_e32 v29, v27, v28
	v_add_f32_e32 v0, v88, v17
	v_sub_f32_e32 v2, v4, v2
	v_sub_f32_e32 v6, v7, v6
	;; [unrolled: 1-line block ×3, first 2 shown]
	v_mov_b32_e32 v21, v0
	v_sub_f32_e32 v8, v8, v18
	v_sub_f32_e32 v7, v2, v6
	v_mul_f32_e32 v30, 0x3f08b237, v30
	v_fmac_f32_e32 v21, 0xbf955555, v17
	v_sub_f32_e32 v4, v8, v2
	v_mul_f32_e32 v18, 0x3f08b237, v7
	v_add_f32_e32 v2, v2, v6
	v_sub_f32_e32 v6, v6, v8
	v_sub_f32_e32 v26, v22, v25
	v_mov_b32_e32 v31, v30
	v_add_f32_e32 v25, v25, v29
	v_add_f32_e32 v17, v20, v21
	v_mov_b32_e32 v20, v18
	v_add_f32_e32 v23, v2, v8
	v_sub_f32_e32 v7, v29, v22
	v_sub_f32_e32 v9, v10, v9
	;; [unrolled: 1-line block ×3, first 2 shown]
	v_mul_f32_e32 v8, 0xbf5ff5aa, v6
	v_fmac_f32_e32 v31, 0xbeae86e6, v26
	v_add_f32_e32 v25, v25, v22
	v_fmac_f32_e32 v20, 0xbeae86e6, v4
	v_mul_f32_e32 v22, 0xbf5ff5aa, v7
	v_fma_f32 v5, v9, s16, -v5
	v_fma_f32 v16, v4, s17, -v8
	;; [unrolled: 1-line block ×6, first 2 shown]
	v_fmac_f32_e32 v31, 0xbee1c552, v25
	v_add_f32_e32 v12, v12, v13
	v_fmac_f32_e32 v20, 0xbee1c552, v23
	v_fma_f32 v22, v26, s17, -v22
	v_add_f32_e32 v10, v5, v13
	v_fma_f32 v15, v14, s16, -v15
	v_add_f32_e32 v8, v8, v13
	v_fmac_f32_e32 v9, 0xbee1c552, v25
	v_fmac_f32_e32 v11, 0xbee1c552, v23
	v_add_f32_e32 v13, v6, v21
	v_add_f32_e32 v3, v31, v12
	v_fmac_f32_e32 v22, 0xbee1c552, v25
	v_add_f32_e32 v15, v15, v21
	v_fmac_f32_e32 v16, 0xbee1c552, v23
	v_sub_f32_e32 v7, v8, v9
	v_add_f32_e32 v6, v11, v13
	v_add_f32_e32 v9, v9, v8
	v_sub_f32_e32 v8, v13, v11
	v_sub_f32_e32 v13, v12, v31
	v_add_f32_e32 v12, v20, v17
	v_add_u32_e32 v14, 0x770, v137
	v_add_f32_e32 v5, v22, v10
	v_sub_f32_e32 v11, v10, v22
	v_add_f32_e32 v10, v16, v15
	ds_write2_b64 v14, v[0:1], v[12:13] offset1:255
	v_add_u32_e32 v0, 0x1760, v137
	v_sub_f32_e32 v4, v15, v16
	ds_write2_b64 v0, v[10:11], v[8:9] offset1:255
	v_add_u32_e32 v0, 0x2750, v137
	v_sub_f32_e32 v2, v17, v20
	ds_write2_b64 v0, v[6:7], v[4:5] offset1:255
	ds_write_b64 v137, v[2:3] offset:14144
.LBB0_21:
	s_or_b64 exec, exec, s[12:13]
	s_waitcnt lgkmcnt(0)
	s_barrier
	s_and_b64 exec, exec, s[0:1]
	s_cbranch_execz .LBB0_23
; %bb.22:
	global_load_dwordx2 v[0:1], v135, s[8:9]
	ds_read_b64 v[4:5], v137
	v_mad_u64_u32 v[2:3], s[0:1], s6, v199, 0
	v_mad_u64_u32 v[6:7], s[0:1], s4, v136, 0
	s_waitcnt lgkmcnt(0)
	v_mad_u64_u32 v[8:9], s[2:3], s7, v199, v[3:4]
	s_mov_b32 s0, 0x125b8012
	s_mov_b32 s1, 0x3f425b80
	v_mad_u64_u32 v[9:10], s[2:3], s5, v136, v[7:8]
	v_mov_b32_e32 v11, s11
	s_mul_i32 s3, s5, 0x348
	v_mov_b32_e32 v7, v9
	v_lshlrev_b64 v[6:7], 3, v[6:7]
	s_mul_hi_u32 s5, s4, 0x348
	s_mul_i32 s2, s4, 0x348
	s_add_i32 s3, s5, s3
	s_movk_i32 s4, 0x1000
	s_waitcnt vmcnt(0)
	v_mul_f32_e32 v3, v5, v1
	v_mul_f32_e32 v1, v4, v1
	v_fmac_f32_e32 v3, v4, v0
	v_fma_f32 v4, v0, v5, -v1
	v_cvt_f64_f32_e32 v[0:1], v3
	v_cvt_f64_f32_e32 v[4:5], v4
	v_mov_b32_e32 v3, v8
	v_lshlrev_b64 v[2:3], 3, v[2:3]
	v_mul_f64 v[0:1], v[0:1], s[0:1]
	v_mul_f64 v[4:5], v[4:5], s[0:1]
	v_add_co_u32_e32 v2, vcc, s10, v2
	v_addc_co_u32_e32 v3, vcc, v11, v3, vcc
	v_cvt_f32_f64_e32 v0, v[0:1]
	v_cvt_f32_f64_e32 v1, v[4:5]
	v_add_co_u32_e32 v4, vcc, v2, v6
	v_addc_co_u32_e32 v5, vcc, v3, v7, vcc
	global_store_dwordx2 v[4:5], v[0:1], off
	global_load_dwordx2 v[6:7], v135, s[8:9] offset:840
	ds_read2_b64 v[0:3], v135 offset0:105 offset1:210
	v_add_co_u32_e32 v4, vcc, s2, v4
	s_waitcnt vmcnt(0) lgkmcnt(0)
	v_mul_f32_e32 v8, v1, v7
	v_mul_f32_e32 v7, v0, v7
	v_fmac_f32_e32 v8, v0, v6
	v_fma_f32 v6, v6, v1, -v7
	v_cvt_f64_f32_e32 v[0:1], v8
	v_cvt_f64_f32_e32 v[6:7], v6
	v_mov_b32_e32 v8, s3
	v_addc_co_u32_e32 v5, vcc, v5, v8, vcc
	v_mul_f64 v[0:1], v[0:1], s[0:1]
	v_mul_f64 v[6:7], v[6:7], s[0:1]
	v_cvt_f32_f64_e32 v0, v[0:1]
	v_cvt_f32_f64_e32 v1, v[6:7]
	global_store_dwordx2 v[4:5], v[0:1], off
	global_load_dwordx2 v[0:1], v135, s[8:9] offset:1680
	v_add_co_u32_e32 v4, vcc, s2, v4
	s_waitcnt vmcnt(0)
	v_mul_f32_e32 v6, v3, v1
	v_mul_f32_e32 v1, v2, v1
	v_fmac_f32_e32 v6, v2, v0
	v_fma_f32 v2, v0, v3, -v1
	v_cvt_f64_f32_e32 v[0:1], v6
	v_cvt_f64_f32_e32 v[2:3], v2
	v_mov_b32_e32 v6, s3
	v_addc_co_u32_e32 v5, vcc, v5, v6, vcc
	v_mul_f64 v[0:1], v[0:1], s[0:1]
	v_mul_f64 v[2:3], v[2:3], s[0:1]
	v_cvt_f32_f64_e32 v0, v[0:1]
	v_cvt_f32_f64_e32 v1, v[2:3]
	global_store_dwordx2 v[4:5], v[0:1], off
	global_load_dwordx2 v[6:7], v135, s[8:9] offset:2520
	v_add_u32_e32 v0, 0x800, v135
	ds_read2_b64 v[0:3], v0 offset0:59 offset1:164
	v_add_co_u32_e32 v4, vcc, s2, v4
	s_waitcnt vmcnt(0) lgkmcnt(0)
	v_mul_f32_e32 v8, v1, v7
	v_mul_f32_e32 v7, v0, v7
	v_fmac_f32_e32 v8, v0, v6
	v_fma_f32 v6, v6, v1, -v7
	v_cvt_f64_f32_e32 v[0:1], v8
	v_cvt_f64_f32_e32 v[6:7], v6
	v_mov_b32_e32 v8, s3
	v_addc_co_u32_e32 v5, vcc, v5, v8, vcc
	v_mul_f64 v[0:1], v[0:1], s[0:1]
	v_mul_f64 v[6:7], v[6:7], s[0:1]
	v_add_co_u32_e32 v10, vcc, s8, v135
	v_cvt_f32_f64_e32 v0, v[0:1]
	v_cvt_f32_f64_e32 v1, v[6:7]
	global_store_dwordx2 v[4:5], v[0:1], off
	global_load_dwordx2 v[0:1], v135, s[8:9] offset:3360
	s_waitcnt vmcnt(0)
	v_mul_f32_e32 v6, v3, v1
	v_mul_f32_e32 v1, v2, v1
	v_fmac_f32_e32 v6, v2, v0
	v_fma_f32 v2, v0, v3, -v1
	v_cvt_f64_f32_e32 v[0:1], v6
	v_cvt_f64_f32_e32 v[2:3], v2
	v_mov_b32_e32 v6, s9
	v_addc_co_u32_e32 v11, vcc, 0, v6, vcc
	v_mul_f64 v[0:1], v[0:1], s[0:1]
	v_mul_f64 v[2:3], v[2:3], s[0:1]
	v_add_co_u32_e32 v6, vcc, s4, v10
	v_addc_co_u32_e32 v7, vcc, 0, v11, vcc
	v_add_co_u32_e32 v4, vcc, s2, v4
	v_cvt_f32_f64_e32 v0, v[0:1]
	v_cvt_f32_f64_e32 v1, v[2:3]
	v_addc_co_u32_e32 v5, vcc, v5, v8, vcc
	s_movk_i32 s4, 0x2000
	global_store_dwordx2 v[4:5], v[0:1], off
	global_load_dwordx2 v[8:9], v[6:7], off offset:104
	v_add_u32_e32 v0, 0x1000, v135
	ds_read2_b64 v[0:3], v0 offset0:13 offset1:118
	v_add_co_u32_e32 v4, vcc, s2, v4
	s_waitcnt vmcnt(0) lgkmcnt(0)
	v_mul_f32_e32 v12, v1, v9
	v_mul_f32_e32 v9, v0, v9
	v_fmac_f32_e32 v12, v0, v8
	v_fma_f32 v8, v8, v1, -v9
	v_cvt_f64_f32_e32 v[0:1], v12
	v_cvt_f64_f32_e32 v[8:9], v8
	v_mov_b32_e32 v12, s3
	v_addc_co_u32_e32 v5, vcc, v5, v12, vcc
	v_mul_f64 v[0:1], v[0:1], s[0:1]
	v_mul_f64 v[8:9], v[8:9], s[0:1]
	v_cvt_f32_f64_e32 v0, v[0:1]
	v_cvt_f32_f64_e32 v1, v[8:9]
	global_store_dwordx2 v[4:5], v[0:1], off
	global_load_dwordx2 v[0:1], v[6:7], off offset:944
	v_add_co_u32_e32 v4, vcc, s2, v4
	s_waitcnt vmcnt(0)
	v_mul_f32_e32 v8, v3, v1
	v_mul_f32_e32 v1, v2, v1
	v_fmac_f32_e32 v8, v2, v0
	v_fma_f32 v2, v0, v3, -v1
	v_cvt_f64_f32_e32 v[0:1], v8
	v_cvt_f64_f32_e32 v[2:3], v2
	v_mov_b32_e32 v8, s3
	v_addc_co_u32_e32 v5, vcc, v5, v8, vcc
	v_mul_f64 v[0:1], v[0:1], s[0:1]
	v_mul_f64 v[2:3], v[2:3], s[0:1]
	v_cvt_f32_f64_e32 v0, v[0:1]
	v_cvt_f32_f64_e32 v1, v[2:3]
	global_store_dwordx2 v[4:5], v[0:1], off
	global_load_dwordx2 v[8:9], v[6:7], off offset:1784
	v_add_u32_e32 v0, 0x1400, v135
	ds_read2_b64 v[0:3], v0 offset0:95 offset1:200
	v_add_co_u32_e32 v4, vcc, s2, v4
	s_waitcnt vmcnt(0) lgkmcnt(0)
	v_mul_f32_e32 v12, v1, v9
	v_mul_f32_e32 v9, v0, v9
	v_fmac_f32_e32 v12, v0, v8
	v_fma_f32 v8, v8, v1, -v9
	v_cvt_f64_f32_e32 v[0:1], v12
	v_cvt_f64_f32_e32 v[8:9], v8
	v_mov_b32_e32 v12, s3
	v_addc_co_u32_e32 v5, vcc, v5, v12, vcc
	v_mul_f64 v[0:1], v[0:1], s[0:1]
	v_mul_f64 v[8:9], v[8:9], s[0:1]
	v_cvt_f32_f64_e32 v0, v[0:1]
	v_cvt_f32_f64_e32 v1, v[8:9]
	global_store_dwordx2 v[4:5], v[0:1], off
	global_load_dwordx2 v[0:1], v[6:7], off offset:2624
	v_add_co_u32_e32 v4, vcc, s2, v4
	s_waitcnt vmcnt(0)
	v_mul_f32_e32 v8, v3, v1
	v_mul_f32_e32 v1, v2, v1
	v_fmac_f32_e32 v8, v2, v0
	v_fma_f32 v2, v0, v3, -v1
	v_cvt_f64_f32_e32 v[0:1], v8
	v_cvt_f64_f32_e32 v[2:3], v2
	v_mov_b32_e32 v8, s3
	v_addc_co_u32_e32 v5, vcc, v5, v8, vcc
	v_mul_f64 v[0:1], v[0:1], s[0:1]
	v_mul_f64 v[2:3], v[2:3], s[0:1]
	v_cvt_f32_f64_e32 v0, v[0:1]
	v_cvt_f32_f64_e32 v1, v[2:3]
	global_store_dwordx2 v[4:5], v[0:1], off
	global_load_dwordx2 v[6:7], v[6:7], off offset:3464
	v_add_u32_e32 v0, 0x1c00, v135
	ds_read2_b64 v[0:3], v0 offset0:49 offset1:154
	s_waitcnt vmcnt(0) lgkmcnt(0)
	v_mul_f32_e32 v8, v1, v7
	v_mul_f32_e32 v7, v0, v7
	v_fmac_f32_e32 v8, v0, v6
	v_fma_f32 v6, v6, v1, -v7
	v_cvt_f64_f32_e32 v[0:1], v8
	v_cvt_f64_f32_e32 v[6:7], v6
	v_add_co_u32_e32 v8, vcc, s4, v10
	v_mul_f64 v[0:1], v[0:1], s[0:1]
	v_mul_f64 v[6:7], v[6:7], s[0:1]
	v_addc_co_u32_e32 v9, vcc, 0, v11, vcc
	v_add_co_u32_e32 v4, vcc, s2, v4
	v_addc_co_u32_e32 v5, vcc, v5, v12, vcc
	v_cvt_f32_f64_e32 v0, v[0:1]
	v_cvt_f32_f64_e32 v1, v[6:7]
	s_movk_i32 s4, 0x3000
	global_store_dwordx2 v[4:5], v[0:1], off
	global_load_dwordx2 v[0:1], v[8:9], off offset:208
	v_add_co_u32_e32 v4, vcc, s2, v4
	s_waitcnt vmcnt(0)
	v_mul_f32_e32 v6, v3, v1
	v_mul_f32_e32 v1, v2, v1
	v_fmac_f32_e32 v6, v2, v0
	v_fma_f32 v2, v0, v3, -v1
	v_cvt_f64_f32_e32 v[0:1], v6
	v_cvt_f64_f32_e32 v[2:3], v2
	v_mov_b32_e32 v6, s3
	v_addc_co_u32_e32 v5, vcc, v5, v6, vcc
	v_mul_f64 v[0:1], v[0:1], s[0:1]
	v_mul_f64 v[2:3], v[2:3], s[0:1]
	v_cvt_f32_f64_e32 v0, v[0:1]
	v_cvt_f32_f64_e32 v1, v[2:3]
	global_store_dwordx2 v[4:5], v[0:1], off
	global_load_dwordx2 v[6:7], v[8:9], off offset:1048
	v_add_u32_e32 v0, 0x2000, v135
	ds_read2_b64 v[0:3], v0 offset0:131 offset1:236
	v_add_co_u32_e32 v4, vcc, s2, v4
	s_waitcnt vmcnt(0) lgkmcnt(0)
	v_mul_f32_e32 v12, v1, v7
	v_mul_f32_e32 v7, v0, v7
	v_fmac_f32_e32 v12, v0, v6
	v_fma_f32 v6, v6, v1, -v7
	v_cvt_f64_f32_e32 v[0:1], v12
	v_cvt_f64_f32_e32 v[6:7], v6
	v_mov_b32_e32 v12, s3
	v_addc_co_u32_e32 v5, vcc, v5, v12, vcc
	v_mul_f64 v[0:1], v[0:1], s[0:1]
	v_mul_f64 v[6:7], v[6:7], s[0:1]
	v_cvt_f32_f64_e32 v0, v[0:1]
	v_cvt_f32_f64_e32 v1, v[6:7]
	global_store_dwordx2 v[4:5], v[0:1], off
	global_load_dwordx2 v[0:1], v[8:9], off offset:1888
	v_add_co_u32_e32 v4, vcc, s2, v4
	s_waitcnt vmcnt(0)
	v_mul_f32_e32 v6, v3, v1
	v_mul_f32_e32 v1, v2, v1
	v_fmac_f32_e32 v6, v2, v0
	v_fma_f32 v2, v0, v3, -v1
	v_cvt_f64_f32_e32 v[0:1], v6
	v_cvt_f64_f32_e32 v[2:3], v2
	v_mov_b32_e32 v6, s3
	v_addc_co_u32_e32 v5, vcc, v5, v6, vcc
	v_mul_f64 v[0:1], v[0:1], s[0:1]
	v_mul_f64 v[2:3], v[2:3], s[0:1]
	v_cvt_f32_f64_e32 v0, v[0:1]
	v_cvt_f32_f64_e32 v1, v[2:3]
	global_store_dwordx2 v[4:5], v[0:1], off
	global_load_dwordx2 v[6:7], v[8:9], off offset:2728
	v_add_u32_e32 v0, 0x2800, v135
	ds_read2_b64 v[0:3], v0 offset0:85 offset1:190
	v_add_co_u32_e32 v4, vcc, s2, v4
	s_waitcnt vmcnt(0) lgkmcnt(0)
	v_mul_f32_e32 v12, v1, v7
	v_mul_f32_e32 v7, v0, v7
	v_fmac_f32_e32 v12, v0, v6
	v_fma_f32 v6, v6, v1, -v7
	v_cvt_f64_f32_e32 v[0:1], v12
	v_cvt_f64_f32_e32 v[6:7], v6
	v_mov_b32_e32 v12, s3
	v_addc_co_u32_e32 v5, vcc, v5, v12, vcc
	v_mul_f64 v[0:1], v[0:1], s[0:1]
	v_mul_f64 v[6:7], v[6:7], s[0:1]
	v_cvt_f32_f64_e32 v0, v[0:1]
	v_cvt_f32_f64_e32 v1, v[6:7]
	global_store_dwordx2 v[4:5], v[0:1], off
	global_load_dwordx2 v[0:1], v[8:9], off offset:3568
	v_mov_b32_e32 v8, s3
	s_waitcnt vmcnt(0)
	v_mul_f32_e32 v6, v3, v1
	v_mul_f32_e32 v1, v2, v1
	v_fmac_f32_e32 v6, v2, v0
	v_fma_f32 v2, v0, v3, -v1
	v_cvt_f64_f32_e32 v[0:1], v6
	v_cvt_f64_f32_e32 v[2:3], v2
	v_add_co_u32_e32 v6, vcc, s4, v10
	v_mul_f64 v[0:1], v[0:1], s[0:1]
	v_mul_f64 v[2:3], v[2:3], s[0:1]
	v_addc_co_u32_e32 v7, vcc, 0, v11, vcc
	v_add_co_u32_e32 v4, vcc, s2, v4
	v_addc_co_u32_e32 v5, vcc, v5, v8, vcc
	v_cvt_f32_f64_e32 v0, v[0:1]
	v_cvt_f32_f64_e32 v1, v[2:3]
	global_store_dwordx2 v[4:5], v[0:1], off
	global_load_dwordx2 v[8:9], v[6:7], off offset:312
	v_add_u32_e32 v0, 0x3000, v135
	ds_read2_b64 v[0:3], v0 offset0:39 offset1:144
	v_add_co_u32_e32 v4, vcc, s2, v4
	s_waitcnt vmcnt(0) lgkmcnt(0)
	v_mul_f32_e32 v10, v1, v9
	v_mul_f32_e32 v9, v0, v9
	v_fmac_f32_e32 v10, v0, v8
	v_fma_f32 v8, v8, v1, -v9
	v_cvt_f64_f32_e32 v[0:1], v10
	v_cvt_f64_f32_e32 v[8:9], v8
	v_mov_b32_e32 v10, s3
	v_addc_co_u32_e32 v5, vcc, v5, v10, vcc
	v_mul_f64 v[0:1], v[0:1], s[0:1]
	v_mul_f64 v[8:9], v[8:9], s[0:1]
	v_cvt_f32_f64_e32 v0, v[0:1]
	v_cvt_f32_f64_e32 v1, v[8:9]
	global_store_dwordx2 v[4:5], v[0:1], off
	global_load_dwordx2 v[0:1], v[6:7], off offset:1152
	s_waitcnt vmcnt(0)
	v_mul_f32_e32 v6, v3, v1
	v_mul_f32_e32 v1, v2, v1
	v_fmac_f32_e32 v6, v2, v0
	v_fma_f32 v2, v0, v3, -v1
	v_cvt_f64_f32_e32 v[0:1], v6
	v_cvt_f64_f32_e32 v[2:3], v2
	v_mov_b32_e32 v6, s3
	v_mul_f64 v[0:1], v[0:1], s[0:1]
	v_mul_f64 v[2:3], v[2:3], s[0:1]
	v_cvt_f32_f64_e32 v0, v[0:1]
	v_cvt_f32_f64_e32 v1, v[2:3]
	v_add_co_u32_e32 v2, vcc, s2, v4
	v_addc_co_u32_e32 v3, vcc, v5, v6, vcc
	global_store_dwordx2 v[2:3], v[0:1], off
.LBB0_23:
	s_endpgm
	.section	.rodata,"a",@progbits
	.p2align	6, 0x0
	.amdhsa_kernel bluestein_single_back_len1785_dim1_sp_op_CI_CI
		.amdhsa_group_segment_fixed_size 14280
		.amdhsa_private_segment_fixed_size 48
		.amdhsa_kernarg_size 104
		.amdhsa_user_sgpr_count 6
		.amdhsa_user_sgpr_private_segment_buffer 1
		.amdhsa_user_sgpr_dispatch_ptr 0
		.amdhsa_user_sgpr_queue_ptr 0
		.amdhsa_user_sgpr_kernarg_segment_ptr 1
		.amdhsa_user_sgpr_dispatch_id 0
		.amdhsa_user_sgpr_flat_scratch_init 0
		.amdhsa_user_sgpr_private_segment_size 0
		.amdhsa_uses_dynamic_stack 0
		.amdhsa_system_sgpr_private_segment_wavefront_offset 1
		.amdhsa_system_sgpr_workgroup_id_x 1
		.amdhsa_system_sgpr_workgroup_id_y 0
		.amdhsa_system_sgpr_workgroup_id_z 0
		.amdhsa_system_sgpr_workgroup_info 0
		.amdhsa_system_vgpr_workitem_id 0
		.amdhsa_next_free_vgpr 256
		.amdhsa_next_free_sgpr 28
		.amdhsa_reserve_vcc 1
		.amdhsa_reserve_flat_scratch 0
		.amdhsa_float_round_mode_32 0
		.amdhsa_float_round_mode_16_64 0
		.amdhsa_float_denorm_mode_32 3
		.amdhsa_float_denorm_mode_16_64 3
		.amdhsa_dx10_clamp 1
		.amdhsa_ieee_mode 1
		.amdhsa_fp16_overflow 0
		.amdhsa_exception_fp_ieee_invalid_op 0
		.amdhsa_exception_fp_denorm_src 0
		.amdhsa_exception_fp_ieee_div_zero 0
		.amdhsa_exception_fp_ieee_overflow 0
		.amdhsa_exception_fp_ieee_underflow 0
		.amdhsa_exception_fp_ieee_inexact 0
		.amdhsa_exception_int_div_zero 0
	.end_amdhsa_kernel
	.text
.Lfunc_end0:
	.size	bluestein_single_back_len1785_dim1_sp_op_CI_CI, .Lfunc_end0-bluestein_single_back_len1785_dim1_sp_op_CI_CI
                                        ; -- End function
	.section	.AMDGPU.csdata,"",@progbits
; Kernel info:
; codeLenInByte = 23732
; NumSgprs: 32
; NumVgprs: 256
; ScratchSize: 48
; MemoryBound: 0
; FloatMode: 240
; IeeeMode: 1
; LDSByteSize: 14280 bytes/workgroup (compile time only)
; SGPRBlocks: 3
; VGPRBlocks: 63
; NumSGPRsForWavesPerEU: 32
; NumVGPRsForWavesPerEU: 256
; Occupancy: 1
; WaveLimiterHint : 1
; COMPUTE_PGM_RSRC2:SCRATCH_EN: 1
; COMPUTE_PGM_RSRC2:USER_SGPR: 6
; COMPUTE_PGM_RSRC2:TRAP_HANDLER: 0
; COMPUTE_PGM_RSRC2:TGID_X_EN: 1
; COMPUTE_PGM_RSRC2:TGID_Y_EN: 0
; COMPUTE_PGM_RSRC2:TGID_Z_EN: 0
; COMPUTE_PGM_RSRC2:TIDIG_COMP_CNT: 0
	.type	__hip_cuid_5f55c8aa19bbd579,@object ; @__hip_cuid_5f55c8aa19bbd579
	.section	.bss,"aw",@nobits
	.globl	__hip_cuid_5f55c8aa19bbd579
__hip_cuid_5f55c8aa19bbd579:
	.byte	0                               ; 0x0
	.size	__hip_cuid_5f55c8aa19bbd579, 1

	.ident	"AMD clang version 19.0.0git (https://github.com/RadeonOpenCompute/llvm-project roc-6.4.0 25133 c7fe45cf4b819c5991fe208aaa96edf142730f1d)"
	.section	".note.GNU-stack","",@progbits
	.addrsig
	.addrsig_sym __hip_cuid_5f55c8aa19bbd579
	.amdgpu_metadata
---
amdhsa.kernels:
  - .args:
      - .actual_access:  read_only
        .address_space:  global
        .offset:         0
        .size:           8
        .value_kind:     global_buffer
      - .actual_access:  read_only
        .address_space:  global
        .offset:         8
        .size:           8
        .value_kind:     global_buffer
      - .actual_access:  read_only
        .address_space:  global
        .offset:         16
        .size:           8
        .value_kind:     global_buffer
      - .actual_access:  read_only
        .address_space:  global
        .offset:         24
        .size:           8
        .value_kind:     global_buffer
      - .actual_access:  read_only
        .address_space:  global
        .offset:         32
        .size:           8
        .value_kind:     global_buffer
      - .offset:         40
        .size:           8
        .value_kind:     by_value
      - .address_space:  global
        .offset:         48
        .size:           8
        .value_kind:     global_buffer
      - .address_space:  global
        .offset:         56
        .size:           8
        .value_kind:     global_buffer
      - .address_space:  global
        .offset:         64
        .size:           8
        .value_kind:     global_buffer
      - .address_space:  global
        .offset:         72
        .size:           8
        .value_kind:     global_buffer
      - .offset:         80
        .size:           4
        .value_kind:     by_value
      - .address_space:  global
        .offset:         88
        .size:           8
        .value_kind:     global_buffer
      - .address_space:  global
        .offset:         96
        .size:           8
        .value_kind:     global_buffer
    .group_segment_fixed_size: 14280
    .kernarg_segment_align: 8
    .kernarg_segment_size: 104
    .language:       OpenCL C
    .language_version:
      - 2
      - 0
    .max_flat_workgroup_size: 119
    .name:           bluestein_single_back_len1785_dim1_sp_op_CI_CI
    .private_segment_fixed_size: 48
    .sgpr_count:     32
    .sgpr_spill_count: 0
    .symbol:         bluestein_single_back_len1785_dim1_sp_op_CI_CI.kd
    .uniform_work_group_size: 1
    .uses_dynamic_stack: false
    .vgpr_count:     256
    .vgpr_spill_count: 11
    .wavefront_size: 64
amdhsa.target:   amdgcn-amd-amdhsa--gfx906
amdhsa.version:
  - 1
  - 2
...

	.end_amdgpu_metadata
